;; amdgpu-corpus repo=ROCm/rocFFT kind=compiled arch=gfx1030 opt=O3
	.text
	.amdgcn_target "amdgcn-amd-amdhsa--gfx1030"
	.amdhsa_code_object_version 6
	.protected	bluestein_single_fwd_len594_dim1_half_op_CI_CI ; -- Begin function bluestein_single_fwd_len594_dim1_half_op_CI_CI
	.globl	bluestein_single_fwd_len594_dim1_half_op_CI_CI
	.p2align	8
	.type	bluestein_single_fwd_len594_dim1_half_op_CI_CI,@function
bluestein_single_fwd_len594_dim1_half_op_CI_CI: ; @bluestein_single_fwd_len594_dim1_half_op_CI_CI
; %bb.0:
	s_load_dwordx4 s[0:3], s[4:5], 0x28
	v_mul_u32_u24_e32 v1, 0x296, v0
	v_mov_b32_e32 v5, 0
	v_lshrrev_b32_e32 v1, 16, v1
	v_add_nc_u32_e32 v4, s6, v1
	s_waitcnt lgkmcnt(0)
	v_cmp_gt_u64_e32 vcc_lo, s[0:1], v[4:5]
	s_and_saveexec_b32 s0, vcc_lo
	s_cbranch_execz .LBB0_15
; %bb.1:
	s_clause 0x1
	s_load_dwordx2 s[10:11], s[4:5], 0x0
	s_load_dwordx2 s[8:9], s[4:5], 0x38
	v_mul_lo_u16 v1, 0x63, v1
	v_sub_nc_u16 v0, v0, v1
	v_and_b32_e32 v24, 0xffff, v0
	v_cmp_gt_u16_e32 vcc_lo, 54, v0
	v_lshlrev_b32_e32 v23, 2, v24
	s_and_saveexec_b32 s1, vcc_lo
	s_cbranch_execz .LBB0_3
; %bb.2:
	s_load_dwordx2 s[6:7], s[4:5], 0x18
	v_add_nc_u32_e32 v29, 0x200, v23
	s_waitcnt lgkmcnt(0)
	s_load_dwordx4 s[12:15], s[6:7], 0x0
	s_waitcnt lgkmcnt(0)
	v_mad_u64_u32 v[0:1], null, s14, v4, 0
	v_mad_u64_u32 v[2:3], null, s12, v24, 0
	s_mul_i32 s6, s13, 0xd8
	s_mul_hi_u32 s7, s12, 0xd8
	s_add_i32 s7, s7, s6
	v_mad_u64_u32 v[5:6], null, s15, v4, v[1:2]
	v_mad_u64_u32 v[6:7], null, s13, v24, v[3:4]
	v_mov_b32_e32 v1, v5
	v_mov_b32_e32 v3, v6
	v_lshlrev_b64 v[0:1], 2, v[0:1]
	v_lshlrev_b64 v[2:3], 2, v[2:3]
	v_add_co_u32 v0, s0, s2, v0
	v_add_co_ci_u32_e64 v1, s0, s3, v1, s0
	s_mul_i32 s2, s12, 0xd8
	v_add_co_u32 v0, s0, v0, v2
	v_add_co_ci_u32_e64 v1, s0, v1, v3, s0
	v_add_co_u32 v2, s0, v0, s2
	v_add_co_ci_u32_e64 v3, s0, s7, v1, s0
	;; [unrolled: 2-line block ×3, first 2 shown]
	v_add_co_u32 v7, s0, s10, v23
	v_add_co_ci_u32_e64 v8, null, s11, 0, s0
	global_load_dword v9, v[0:1], off
	global_load_dword v10, v23, s[10:11]
	s_clause 0x1
	global_load_dword v11, v[2:3], off
	global_load_dword v12, v[5:6], off
	v_add_co_u32 v0, s0, v5, s2
	v_add_co_ci_u32_e64 v1, s0, s7, v6, s0
	s_clause 0x5
	global_load_dword v13, v23, s[10:11] offset:216
	global_load_dword v14, v23, s[10:11] offset:432
	;; [unrolled: 1-line block ×6, first 2 shown]
	global_load_dword v19, v[0:1], off
	v_add_co_u32 v0, s0, v0, s2
	v_add_co_ci_u32_e64 v1, s0, s7, v1, s0
	s_clause 0x1
	global_load_dword v20, v23, s[10:11] offset:1512
	global_load_dword v21, v23, s[10:11] offset:1728
	v_add_co_u32 v2, s0, v0, s2
	v_add_co_ci_u32_e64 v3, s0, s7, v1, s0
	global_load_dword v22, v[0:1], off
	v_add_co_u32 v0, s0, v2, s2
	v_add_co_ci_u32_e64 v1, s0, s7, v3, s0
	global_load_dword v25, v[2:3], off
	;; [unrolled: 3-line block ×5, first 2 shown]
	v_add_co_u32 v0, s0, v2, s2
	v_add_co_ci_u32_e64 v1, s0, s7, v3, s0
	v_add_co_u32 v5, s0, 0x800, v7
	v_add_co_ci_u32_e64 v6, s0, 0, v8, s0
	global_load_dword v2, v[2:3], off
	global_load_dword v0, v[0:1], off
	s_clause 0x1
	global_load_dword v1, v23, s[10:11] offset:1944
	global_load_dword v3, v[5:6], off offset:112
	s_waitcnt vmcnt(21)
	v_lshrrev_b32_e32 v5, 16, v9
	s_waitcnt vmcnt(20)
	v_mul_f16_sdwa v6, v10, v9 dst_sel:DWORD dst_unused:UNUSED_PAD src0_sel:WORD_1 src1_sel:DWORD
	s_waitcnt vmcnt(19)
	v_lshrrev_b32_e32 v8, 16, v11
	s_waitcnt vmcnt(17)
	v_mul_f16_sdwa v30, v13, v11 dst_sel:DWORD dst_unused:UNUSED_PAD src0_sel:WORD_1 src1_sel:DWORD
	v_mul_f16_sdwa v7, v10, v5 dst_sel:DWORD dst_unused:UNUSED_PAD src0_sel:WORD_1 src1_sel:DWORD
	v_fma_f16 v5, v10, v5, -v6
	v_mul_f16_sdwa v6, v13, v8 dst_sel:DWORD dst_unused:UNUSED_PAD src0_sel:WORD_1 src1_sel:DWORD
	v_fma_f16 v8, v13, v8, -v30
	v_fmac_f16_e32 v7, v10, v9
	v_lshrrev_b32_e32 v9, 16, v12
	s_waitcnt vmcnt(16)
	v_mul_f16_sdwa v10, v14, v12 dst_sel:DWORD dst_unused:UNUSED_PAD src0_sel:WORD_1 src1_sel:DWORD
	v_fmac_f16_e32 v6, v13, v11
	s_waitcnt vmcnt(11)
	v_lshrrev_b32_e32 v11, 16, v19
	v_mul_f16_sdwa v13, v15, v19 dst_sel:DWORD dst_unused:UNUSED_PAD src0_sel:WORD_1 src1_sel:DWORD
	v_pack_b32_f16 v5, v7, v5
	v_mul_f16_sdwa v7, v14, v9 dst_sel:DWORD dst_unused:UNUSED_PAD src0_sel:WORD_1 src1_sel:DWORD
	v_fma_f16 v9, v14, v9, -v10
	v_pack_b32_f16 v6, v6, v8
	v_mul_f16_sdwa v8, v15, v11 dst_sel:DWORD dst_unused:UNUSED_PAD src0_sel:WORD_1 src1_sel:DWORD
	v_fma_f16 v10, v15, v11, -v13
	s_waitcnt vmcnt(8)
	v_lshrrev_b32_e32 v11, 16, v22
	v_fmac_f16_e32 v7, v14, v12
	v_mul_f16_sdwa v12, v16, v22 dst_sel:DWORD dst_unused:UNUSED_PAD src0_sel:WORD_1 src1_sel:DWORD
	ds_write2_b32 v23, v5, v6 offset1:54
	v_fmac_f16_e32 v8, v15, v19
	v_mul_f16_sdwa v6, v16, v11 dst_sel:DWORD dst_unused:UNUSED_PAD src0_sel:WORD_1 src1_sel:DWORD
	v_pack_b32_f16 v5, v7, v9
	s_waitcnt vmcnt(7)
	v_lshrrev_b32_e32 v7, 16, v25
	v_fma_f16 v9, v16, v11, -v12
	v_mul_f16_sdwa v11, v17, v25 dst_sel:DWORD dst_unused:UNUSED_PAD src0_sel:WORD_1 src1_sel:DWORD
	v_fmac_f16_e32 v6, v16, v22
	s_waitcnt vmcnt(6)
	v_lshrrev_b32_e32 v12, 16, v26
	v_pack_b32_f16 v8, v8, v10
	v_mul_f16_sdwa v10, v17, v7 dst_sel:DWORD dst_unused:UNUSED_PAD src0_sel:WORD_1 src1_sel:DWORD
	v_fma_f16 v7, v17, v7, -v11
	v_mul_f16_sdwa v11, v18, v26 dst_sel:DWORD dst_unused:UNUSED_PAD src0_sel:WORD_1 src1_sel:DWORD
	v_pack_b32_f16 v6, v6, v9
	v_mul_f16_sdwa v9, v18, v12 dst_sel:DWORD dst_unused:UNUSED_PAD src0_sel:WORD_1 src1_sel:DWORD
	v_fmac_f16_e32 v10, v17, v25
	s_waitcnt vmcnt(5)
	v_lshrrev_b32_e32 v13, 16, v27
	v_mul_f16_sdwa v14, v20, v27 dst_sel:DWORD dst_unused:UNUSED_PAD src0_sel:WORD_1 src1_sel:DWORD
	v_fma_f16 v11, v18, v12, -v11
	v_fmac_f16_e32 v9, v18, v26
	v_pack_b32_f16 v7, v10, v7
	v_mul_f16_sdwa v10, v20, v13 dst_sel:DWORD dst_unused:UNUSED_PAD src0_sel:WORD_1 src1_sel:DWORD
	v_fma_f16 v12, v20, v13, -v14
	s_waitcnt vmcnt(4)
	v_lshrrev_b32_e32 v13, 16, v28
	v_mul_f16_sdwa v14, v21, v28 dst_sel:DWORD dst_unused:UNUSED_PAD src0_sel:WORD_1 src1_sel:DWORD
	v_pack_b32_f16 v9, v9, v11
	s_waitcnt vmcnt(3)
	v_lshrrev_b32_e32 v11, 16, v2
	s_waitcnt vmcnt(2)
	v_lshrrev_b32_e32 v15, 16, v0
	v_mul_f16_sdwa v16, v21, v13 dst_sel:DWORD dst_unused:UNUSED_PAD src0_sel:WORD_1 src1_sel:DWORD
	v_fma_f16 v13, v21, v13, -v14
	s_waitcnt vmcnt(1)
	v_mul_f16_sdwa v14, v1, v2 dst_sel:DWORD dst_unused:UNUSED_PAD src0_sel:WORD_1 src1_sel:DWORD
	v_mul_f16_sdwa v17, v1, v11 dst_sel:DWORD dst_unused:UNUSED_PAD src0_sel:WORD_1 src1_sel:DWORD
	s_waitcnt vmcnt(0)
	v_mul_f16_sdwa v18, v3, v15 dst_sel:DWORD dst_unused:UNUSED_PAD src0_sel:WORD_1 src1_sel:DWORD
	v_mul_f16_sdwa v19, v3, v0 dst_sel:DWORD dst_unused:UNUSED_PAD src0_sel:WORD_1 src1_sel:DWORD
	v_fmac_f16_e32 v10, v20, v27
	v_fmac_f16_e32 v16, v21, v28
	v_fma_f16 v11, v1, v11, -v14
	v_fmac_f16_e32 v17, v1, v2
	v_fmac_f16_e32 v18, v3, v0
	v_fma_f16 v0, v3, v15, -v19
	v_pack_b32_f16 v1, v10, v12
	v_add_nc_u32_e32 v2, 0x400, v23
	v_pack_b32_f16 v3, v16, v13
	v_pack_b32_f16 v10, v17, v11
	;; [unrolled: 1-line block ×3, first 2 shown]
	ds_write2_b32 v23, v5, v8 offset0:108 offset1:162
	ds_write2_b32 v29, v6, v7 offset0:88 offset1:142
	;; [unrolled: 1-line block ×4, first 2 shown]
	ds_write_b32 v23, v0 offset:2160
.LBB0_3:
	s_or_b32 exec_lo, exec_lo, s1
	s_clause 0x1
	s_load_dwordx2 s[2:3], s[4:5], 0x20
	s_load_dwordx2 s[0:1], s[4:5], 0x8
	v_mov_b32_e32 v2, 0
	s_waitcnt lgkmcnt(0)
	s_barrier
	buffer_gl0_inv
                                        ; implicit-def: $vgpr15
                                        ; implicit-def: $vgpr1
                                        ; implicit-def: $vgpr10
                                        ; implicit-def: $vgpr12
                                        ; implicit-def: $vgpr14
                                        ; kill: def $vgpr0 killed $sgpr0 killed $exec
	s_and_saveexec_b32 s4, vcc_lo
	s_cbranch_execz .LBB0_5
; %bb.4:
	v_add_nc_u32_e32 v0, 0x200, v23
	v_add_nc_u32_e32 v1, 0x400, v23
	ds_read2_b32 v[2:3], v23 offset1:54
	ds_read2_b32 v[13:14], v23 offset0:108 offset1:162
	ds_read2_b32 v[11:12], v0 offset0:88 offset1:142
	;; [unrolled: 1-line block ×4, first 2 shown]
	ds_read_b32 v15, v23 offset:2160
.LBB0_5:
	s_or_b32 exec_lo, exec_lo, s4
	s_waitcnt lgkmcnt(0)
	v_pk_add_f16 v7, v3, v15 neg_lo:[0,1] neg_hi:[0,1]
	v_pk_add_f16 v25, v15, v3
	v_mov_b32_e32 v26, 0xbbeb
	v_mov_b32_e32 v27, 0xba0c
	;; [unrolled: 1-line block ×3, first 2 shown]
	v_mul_f16_e32 v18, 0xbb47, v7
	v_lshrrev_b32_e32 v35, 16, v25
	v_mul_f16_e32 v20, 0xbbeb, v7
	v_mul_f16_sdwa v19, v7, v26 dst_sel:DWORD dst_unused:UNUSED_PAD src0_sel:WORD_1 src1_sel:DWORD
	v_mul_f16_sdwa v22, v7, v27 dst_sel:DWORD dst_unused:UNUSED_PAD src0_sel:WORD_1 src1_sel:DWORD
	;; [unrolled: 1-line block ×3, first 2 shown]
	v_fma_f16 v6, v35, 0x36a6, -v18
	v_fma_f16 v21, v35, 0xb08e, -v20
	v_fmamk_f16 v17, v25, 0xb08e, v19
	v_mov_b32_e32 v32, 0xb482
	v_pk_add_f16 v47, v13, v1 neg_lo:[0,1] neg_hi:[0,1]
	v_add_f16_sdwa v29, v6, v2 dst_sel:DWORD dst_unused:UNUSED_PAD src0_sel:DWORD src1_sel:WORD_1
	v_add_f16_sdwa v31, v21, v2 dst_sel:DWORD dst_unused:UNUSED_PAD src0_sel:DWORD src1_sel:WORD_1
	v_mov_b32_e32 v6, 0xbb47
	v_mul_f16_e32 v33, 0xba0c, v7
	v_fmamk_f16 v21, v25, 0xb93d, v22
	v_fmamk_f16 v5, v25, 0x3abb, v16
	v_add_f16_e32 v30, v17, v2
	v_mul_f16_sdwa v36, v7, v32 dst_sel:DWORD dst_unused:UNUSED_PAD src0_sel:WORD_1 src1_sel:DWORD
	v_pk_add_f16 v37, v1, v13
	v_mul_f16_sdwa v17, v47, v6 dst_sel:DWORD dst_unused:UNUSED_PAD src0_sel:WORD_1 src1_sel:DWORD
	v_fma_f16 v6, v35, 0xb93d, -v33
	v_add_f16_e32 v38, v21, v2
	v_mov_b32_e32 v21, 0x3beb
	v_add_f16_e32 v5, v5, v2
	v_fmamk_f16 v39, v25, 0xbbad, v36
	v_fmamk_f16 v40, v37, 0x36a6, v17
	v_add_f16_sdwa v46, v6, v2 dst_sel:DWORD dst_unused:UNUSED_PAD src0_sel:DWORD src1_sel:WORD_1
	v_mov_b32_e32 v6, 0x3853
	v_mul_f16_sdwa v34, v47, v21 dst_sel:DWORD dst_unused:UNUSED_PAD src0_sel:WORD_1 src1_sel:DWORD
	v_add_f16_e32 v41, v39, v2
	v_add_f16_e32 v51, v40, v5
	v_pk_add_f16 v52, v14, v0 neg_lo:[0,1] neg_hi:[0,1]
	v_mul_f16_sdwa v39, v47, v6 dst_sel:DWORD dst_unused:UNUSED_PAD src0_sel:WORD_1 src1_sel:DWORD
	v_fmamk_f16 v5, v37, 0xb08e, v34
	v_pk_add_f16 v42, v0, v14
	v_pk_add_f16 v64, v11, v10 neg_lo:[0,1] neg_hi:[0,1]
	v_mul_f16_sdwa v48, v52, v27 dst_sel:DWORD dst_unused:UNUSED_PAD src0_sel:WORD_1 src1_sel:DWORD
	v_fmamk_f16 v40, v37, 0x3abb, v39
	v_add_f16_e32 v5, v5, v38
	v_mul_f16_sdwa v38, v52, v8 dst_sel:DWORD dst_unused:UNUSED_PAD src0_sel:WORD_1 src1_sel:DWORD
	v_mov_b32_e32 v53, 0x3b47
	v_fmamk_f16 v44, v42, 0xb93d, v48
	v_add_f16_e32 v40, v40, v41
	v_pk_add_f16 v49, v10, v11
	v_fmamk_f16 v43, v42, 0x3abb, v38
	v_mul_f16_sdwa v41, v64, v32 dst_sel:DWORD dst_unused:UNUSED_PAD src0_sel:WORD_1 src1_sel:DWORD
	v_mul_f16_sdwa v57, v64, v53 dst_sel:DWORD dst_unused:UNUSED_PAD src0_sel:WORD_1 src1_sel:DWORD
	v_pk_add_f16 v71, v12, v9 neg_lo:[0,1] neg_hi:[0,1]
	v_mov_b32_e32 v6, 0x3482
	v_add_f16_e32 v5, v43, v5
	v_add_f16_e32 v40, v44, v40
	v_fmamk_f16 v43, v49, 0xbbad, v41
	v_fmamk_f16 v44, v49, 0x36a6, v57
	v_pk_add_f16 v56, v9, v12
	v_mul_f16_sdwa v54, v71, v53 dst_sel:DWORD dst_unused:UNUSED_PAD src0_sel:WORD_1 src1_sel:DWORD
	v_mul_f16_sdwa v63, v71, v26 dst_sel:DWORD dst_unused:UNUSED_PAD src0_sel:WORD_1 src1_sel:DWORD
	v_lshrrev_b32_e32 v45, 16, v37
	v_mul_f16_sdwa v55, v47, v6 dst_sel:DWORD dst_unused:UNUSED_PAD src0_sel:WORD_1 src1_sel:DWORD
	v_add_f16_e32 v5, v43, v5
	v_add_f16_e32 v40, v44, v40
	v_fmamk_f16 v6, v56, 0x36a6, v54
	v_fmamk_f16 v43, v56, 0xb08e, v63
	v_mul_f16_e32 v60, 0x3482, v47
	v_mul_f16_e32 v21, 0xba0c, v47
	v_mul_f16_e32 v77, 0xb482, v7
	v_add_f16_e32 v6, v6, v5
	v_add_f16_e32 v5, v43, v40
	v_fma_f16 v40, v45, 0xbbad, -v60
	v_pk_mul_f16 v28, 0x3abb36a6, v25
	v_fma_f16 v44, v45, 0xb93d, -v21
	v_fmamk_f16 v50, v37, 0xbbad, v55
	v_mul_f16_e32 v69, 0x3beb, v47
	v_add_f16_e32 v31, v40, v31
	v_fma_f16 v40, v35, 0xbbad, -v77
	v_mul_f16_e32 v79, 0x3853, v47
	v_add_f16_e32 v29, v44, v29
	v_pk_mul_f16 v58, 0x36a6b93d, v37
	v_add_f16_e32 v30, v50, v30
	v_fma_f16 v50, v45, 0xb08e, -v69
	v_pk_fma_f16 v43, 0xbb47b853, v7, v28 op_sel:[0,0,1] op_sel_hi:[1,1,0] neg_lo:[0,1,0] neg_hi:[0,1,0]
	v_pk_fma_f16 v44, 0xbb47b853, v7, v28 op_sel:[0,0,1] op_sel_hi:[1,1,0]
	v_add_f16_sdwa v28, v40, v2 dst_sel:DWORD dst_unused:UNUSED_PAD src0_sel:DWORD src1_sel:WORD_1
	v_fma_f16 v59, v45, 0x3abb, -v79
	v_mul_f16_sdwa v40, v52, v26 dst_sel:DWORD dst_unused:UNUSED_PAD src0_sel:WORD_1 src1_sel:DWORD
	v_add_f16_e32 v7, v50, v46
	v_lshrrev_b32_e32 v75, 16, v42
	v_mul_f16_e32 v50, 0x3482, v52
	v_pk_fma_f16 v46, 0xba0cbb47, v47, v58 op_sel:[0,0,1] op_sel_hi:[1,1,0] neg_lo:[0,1,0] neg_hi:[0,1,0]
	v_pk_fma_f16 v47, 0xba0cbb47, v47, v58 op_sel:[0,0,1] op_sel_hi:[1,1,0]
	v_add_f16_e32 v26, v59, v28
	v_fmamk_f16 v28, v42, 0xb08e, v40
	v_mul_f16_sdwa v58, v52, v53 dst_sel:DWORD dst_unused:UNUSED_PAD src0_sel:WORD_1 src1_sel:DWORD
	v_mul_f16_e32 v67, 0x3b47, v52
	v_fma_f16 v59, v75, 0xbbad, -v50
	v_mul_f16_e32 v73, 0xb853, v52
	v_add_f16_e32 v28, v28, v51
	v_fmamk_f16 v51, v42, 0x36a6, v58
	v_fma_f16 v53, v75, 0x36a6, -v67
	v_pk_mul_f16 v61, 0xb08ebbad, v42
	v_add_f16_e32 v29, v59, v29
	v_fma_f16 v59, v75, 0x3abb, -v73
	v_mul_f16_e32 v80, 0xba0c, v52
	v_add_f16_e32 v30, v51, v30
	v_add_f16_e32 v31, v53, v31
	v_pk_fma_f16 v51, 0x3482bbeb, v52, v61 op_sel:[0,0,1] op_sel_hi:[1,1,0] neg_lo:[0,1,0] neg_hi:[0,1,0]
	v_pk_fma_f16 v53, 0x3482bbeb, v52, v61 op_sel:[0,0,1] op_sel_hi:[1,1,0]
	v_mul_f16_sdwa v52, v64, v27 dst_sel:DWORD dst_unused:UNUSED_PAD src0_sel:WORD_1 src1_sel:DWORD
	v_add_f16_e32 v7, v59, v7
	v_lshrrev_b32_e32 v78, 16, v49
	v_mul_f16_e32 v59, 0x3beb, v64
	v_mul_f16_sdwa v65, v64, v8 dst_sel:DWORD dst_unused:UNUSED_PAD src0_sel:WORD_1 src1_sel:DWORD
	v_fmamk_f16 v8, v49, 0xb93d, v52
	v_mul_f16_e32 v72, 0xb853, v64
	v_mul_f16_e32 v76, 0xb482, v64
	v_fma_f16 v61, v78, 0xb08e, -v59
	v_fma_f16 v62, v75, 0xb93d, -v80
	v_add_f16_e32 v8, v8, v28
	v_fma_f16 v28, v78, 0x3abb, -v72
	v_mul_f16_e32 v83, 0x3b47, v64
	v_add_f16_e32 v29, v61, v29
	v_fma_f16 v61, v78, 0xbbad, -v76
	v_add_f16_e32 v26, v62, v26
	v_add_f16_e32 v31, v28, v31
	v_add_f16_sdwa v28, v44, v2 dst_sel:DWORD dst_unused:UNUSED_PAD src0_sel:WORD_1 src1_sel:DWORD
	v_fmamk_f16 v62, v49, 0x3abb, v65
	v_pk_mul_f16 v66, 0xb93db08e, v49
	v_add_f16_e32 v85, v61, v7
	v_mul_f16_sdwa v61, v71, v32 dst_sel:DWORD dst_unused:UNUSED_PAD src0_sel:WORD_1 src1_sel:DWORD
	v_add_f16_sdwa v7, v47, v28 dst_sel:DWORD dst_unused:UNUSED_PAD src0_sel:WORD_1 src1_sel:DWORD
	v_fma_f16 v28, v78, 0x36a6, -v83
	v_mul_f16_sdwa v68, v71, v27 dst_sel:DWORD dst_unused:UNUSED_PAD src0_sel:WORD_1 src1_sel:DWORD
	v_add_f16_e32 v30, v62, v30
	v_pk_fma_f16 v62, 0x3bebba0c, v64, v66 op_sel:[0,0,1] op_sel_hi:[1,1,0] neg_lo:[0,1,0] neg_hi:[0,1,0]
	v_pk_fma_f16 v64, 0x3bebba0c, v64, v66 op_sel:[0,0,1] op_sel_hi:[1,1,0]
	v_fmamk_f16 v27, v56, 0xbbad, v61
	v_add_f16_sdwa v7, v53, v7 dst_sel:DWORD dst_unused:UNUSED_PAD src0_sel:WORD_1 src1_sel:DWORD
	v_add_f16_e32 v26, v28, v26
	v_fmamk_f16 v28, v56, 0xb93d, v68
	v_add_f16_sdwa v74, v43, v2 dst_sel:DWORD dst_unused:UNUSED_PAD src0_sel:DWORD src1_sel:WORD_1
	v_add_f16_e32 v27, v27, v8
	v_add_f16_sdwa v8, v64, v7 dst_sel:DWORD dst_unused:UNUSED_PAD src0_sel:WORD_1 src1_sel:DWORD
	v_pk_mul_f16 v32, 0xbbad3abb, v56
	v_add_f16_e32 v7, v28, v30
	v_add_f16_e32 v28, v46, v74
	v_lshrrev_b32_e32 v82, 16, v56
	v_mul_f16_e32 v70, 0x3853, v71
	v_mul_f16_e32 v74, 0xba0c, v71
	;; [unrolled: 1-line block ×4, first 2 shown]
	v_add_f16_e32 v28, v51, v28
	v_pk_fma_f16 v66, 0x3853b482, v71, v32 op_sel:[0,0,1] op_sel_hi:[1,1,0]
	v_fma_f16 v30, v82, 0x3abb, -v70
	v_fma_f16 v86, v82, 0xb93d, -v74
	;; [unrolled: 1-line block ×3, first 2 shown]
	v_pk_fma_f16 v71, 0x3853b482, v71, v32 op_sel:[0,0,1] op_sel_hi:[1,1,0] neg_lo:[0,1,0] neg_hi:[0,1,0]
	v_fma_f16 v32, v82, 0xb08e, -v84
	v_add_f16_e32 v88, v62, v28
	v_add_f16_sdwa v8, v66, v8 dst_sel:DWORD dst_unused:UNUSED_PAD src0_sel:WORD_1 src1_sel:DWORD
	v_add_f16_e32 v28, v30, v29
	v_add_f16_e32 v30, v86, v31
	;; [unrolled: 1-line block ×5, first 2 shown]
	v_mul_lo_u16 v26, v24, 11
	s_barrier
	buffer_gl0_inv
	s_and_saveexec_b32 s4, vcc_lo
	s_cbranch_execz .LBB0_7
; %bb.6:
	v_mul_f16_e32 v85, 0xbbad, v35
	v_mul_f16_e32 v89, 0x3abb, v45
	v_mul_f16_e32 v86, 0x3abb, v25
	v_mul_f16_e32 v87, 0x36a6, v35
	v_mul_f16_e32 v88, 0xb08e, v25
	v_add_f16_e32 v77, v77, v85
	v_add_f16_e32 v79, v79, v89
	v_mul_f16_e32 v89, 0xb93d, v75
	v_mul_f16_e32 v85, 0xb08e, v35
	;; [unrolled: 1-line block ×3, first 2 shown]
	v_add_f16_sdwa v77, v77, v2 dst_sel:DWORD dst_unused:UNUSED_PAD src0_sel:DWORD src1_sel:WORD_1
	v_mul_f16_e32 v35, 0xb93d, v35
	v_mul_f16_e32 v25, 0xbbad, v25
	v_pk_add_f16 v3, v3, v2
	v_mul_f16_e32 v91, 0x36a6, v37
	v_add_f16_e32 v77, v79, v77
	v_add_f16_e32 v79, v80, v89
	v_mul_f16_e32 v80, 0x36a6, v78
	v_mul_f16_e32 v92, 0xb93d, v45
	;; [unrolled: 1-line block ×5, first 2 shown]
	v_add_f16_e32 v77, v79, v77
	v_add_f16_e32 v79, v83, v80
	v_mul_f16_e32 v45, 0xb08e, v45
	v_mul_f16_e32 v37, 0x3abb, v37
	;; [unrolled: 1-line block ×3, first 2 shown]
	v_sub_f16_e32 v25, v25, v36
	v_add_f16_e32 v33, v33, v35
	v_add_f16_e32 v18, v18, v87
	v_pk_add_f16 v3, v13, v3
	v_mul_f16_e32 v80, 0xb08e, v42
	v_add_f16_e32 v77, v79, v77
	v_mul_f16_e32 v79, 0xbbad, v75
	v_mul_f16_e32 v36, 0x36a6, v42
	v_add_f16_e32 v83, v84, v83
	v_mul_f16_e32 v84, 0x36a6, v75
	v_sub_f16_e32 v37, v37, v39
	v_mul_f16_e32 v39, 0x3abb, v42
	v_add_f16_e32 v25, v25, v2
	v_mul_f16_e32 v75, 0x3abb, v75
	v_mul_f16_e32 v42, 0xb93d, v42
	v_add_f16_e32 v45, v69, v45
	v_add_f16_sdwa v33, v33, v2 dst_sel:DWORD dst_unused:UNUSED_PAD src0_sel:DWORD src1_sel:WORD_1
	v_sub_f16_e32 v22, v90, v22
	v_add_f16_sdwa v18, v18, v2 dst_sel:DWORD dst_unused:UNUSED_PAD src0_sel:DWORD src1_sel:WORD_1
	v_add_f16_e32 v21, v21, v92
	v_pk_add_f16 v3, v14, v3
	v_add_f16_e32 v77, v83, v77
	v_mul_f16_e32 v83, 0xb93d, v49
	v_add_f16_e32 v25, v37, v25
	v_mul_f16_e32 v37, 0xb08e, v78
	v_sub_f16_e32 v42, v42, v48
	v_mul_f16_e32 v48, 0x3abb, v49
	v_mul_f16_e32 v35, 0x3abb, v78
	;; [unrolled: 1-line block ×5, first 2 shown]
	v_add_f16_e32 v33, v45, v33
	v_sub_f16_e32 v34, v94, v34
	v_add_f16_e32 v22, v22, v2
	v_add_f16_e32 v73, v73, v75
	;; [unrolled: 1-line block ×4, first 2 shown]
	v_pk_add_f16 v3, v11, v3
	v_sub_f16_e32 v49, v49, v57
	v_mul_f16_e32 v57, 0x3abb, v82
	v_mul_f16_e32 v90, 0xb93d, v82
	;; [unrolled: 1-line block ×3, first 2 shown]
	v_add_f16_e32 v22, v34, v22
	v_sub_f16_e32 v34, v39, v38
	v_add_f16_e32 v33, v73, v33
	v_add_f16_e32 v38, v76, v78
	;; [unrolled: 1-line block ×3, first 2 shown]
	v_sub_f16_e32 v19, v88, v19
	v_sub_f16_e32 v16, v86, v16
	v_add_f16_e32 v11, v14, v18
	v_add_f16_e32 v14, v59, v37
	v_pk_add_f16 v3, v12, v3
	v_bfi_b32 v12, 0xffff, v44, v43
	v_mul_f16_e32 v94, 0x36a6, v56
	v_add_f16_e32 v22, v34, v22
	v_sub_f16_e32 v34, v69, v41
	v_add_f16_e32 v33, v38, v33
	v_add_f16_e32 v39, v81, v82
	v_add_f16_sdwa v20, v20, v2 dst_sel:DWORD dst_unused:UNUSED_PAD src0_sel:DWORD src1_sel:WORD_1
	v_add_f16_e32 v19, v19, v2
	v_add_f16_e32 v16, v16, v2
	v_sub_f16_e32 v17, v91, v17
	v_add_f16_e32 v11, v14, v11
	v_bfi_b32 v14, 0xffff, v47, v46
	v_pk_add_f16 v3, v9, v3
	v_pk_add_f16 v2, v12, v2 op_sel:[0,1] op_sel_hi:[1,0]
	v_add_f16_e32 v38, v60, v93
	v_add_f16_e32 v22, v34, v22
	v_sub_f16_e32 v34, v94, v54
	v_add_f16_e32 v33, v39, v33
	v_sub_f16_e32 v39, v89, v55
	;; [unrolled: 2-line block ×3, first 2 shown]
	v_bfi_b32 v17, 0xffff, v53, v51
	v_pk_add_f16 v3, v10, v3
	v_pk_add_f16 v2, v14, v2
	v_add_f16_e32 v20, v38, v20
	v_add_f16_e32 v38, v67, v84
	;; [unrolled: 1-line block ×5, first 2 shown]
	v_sub_f16_e32 v35, v36, v58
	v_add_f16_e32 v25, v42, v25
	v_mul_f16_e32 v42, 0xbbad, v56
	v_add_f16_e32 v9, v9, v16
	v_sub_f16_e32 v10, v83, v52
	v_bfi_b32 v14, 0xffff, v64, v62
	v_pk_add_f16 v0, v0, v3
	v_pk_add_f16 v2, v17, v2
	v_mul_f16_e32 v45, 0xb93d, v56
	v_add_f16_e32 v20, v38, v20
	v_add_f16_e32 v13, v35, v19
	v_sub_f16_e32 v19, v48, v65
	v_mul_f16_e32 v56, 0xb08e, v56
	v_add_f16_e32 v12, v70, v57
	v_bfi_b32 v3, 0xffff, v66, v71
	v_add_f16_e32 v9, v10, v9
	v_mov_b32_e32 v10, 2
	v_pk_add_f16 v0, v1, v0
	v_pk_add_f16 v1, v14, v2
	v_sub_f16_e32 v2, v42, v61
	v_add_f16_e32 v20, v34, v20
	v_add_f16_e32 v34, v74, v90
	;; [unrolled: 1-line block ×3, first 2 shown]
	v_sub_f16_e32 v19, v45, v68
	v_add_f16_e32 v25, v49, v25
	v_sub_f16_e32 v49, v56, v63
	v_add_f16_e32 v11, v12, v11
	v_lshlrev_b32_sdwa v10, v10, v26 dst_sel:DWORD dst_unused:UNUSED_PAD src0_sel:DWORD src1_sel:WORD_0
	v_pk_add_f16 v0, v15, v0
	v_pk_add_f16 v1, v3, v1
	v_add_f16_e32 v2, v2, v9
	v_add_f16_e32 v3, v34, v20
	;; [unrolled: 1-line block ×4, first 2 shown]
	ds_write_b32 v10, v0
	v_alignbit_b32 v0, v11, v1, 16
	v_pack_b32_f16 v1, v2, v1
	v_pack_b32_f16 v2, v22, v33
	;; [unrolled: 1-line block ×4, first 2 shown]
	v_perm_b32 v11, v32, v5, 0x5040100
	v_perm_b32 v12, v30, v7, 0x5040100
	;; [unrolled: 1-line block ×5, first 2 shown]
	ds_write2_b32 v10, v1, v0 offset0:1 offset1:2
	ds_write2_b32 v10, v3, v2 offset0:3 offset1:4
	;; [unrolled: 1-line block ×5, first 2 shown]
.LBB0_7:
	s_or_b32 exec_lo, exec_lo, s4
	v_and_b32_e32 v0, 0xff, v24
	v_add_co_u32 v19, null, 0x63, v24
	s_load_dwordx4 s[4:7], s[2:3], 0x0
	s_waitcnt lgkmcnt(0)
	v_mul_lo_u16 v1, 0x75, v0
	v_and_b32_e32 v2, 0xff, v19
	s_barrier
	buffer_gl0_inv
	v_mov_b32_e32 v33, 33
	v_lshrrev_b16 v1, 8, v1
	v_mul_lo_u16 v2, 0x75, v2
	v_sub_nc_u16 v3, v24, v1
	v_lshrrev_b16 v2, 8, v2
	v_lshrrev_b16 v3, 1, v3
	v_sub_nc_u16 v9, v19, v2
	v_and_b32_e32 v3, 0x7f, v3
	v_lshrrev_b16 v9, 1, v9
	v_add_nc_u16 v1, v3, v1
	v_and_b32_e32 v3, 0x7f, v9
	v_lshrrev_b16 v17, 3, v1
	v_add_nc_u16 v1, v3, v2
	v_mul_lo_u16 v2, v17, 11
	v_lshrrev_b16 v18, 3, v1
	v_mul_u32_u24_sdwa v17, v17, v33 dst_sel:DWORD dst_unused:UNUSED_PAD src0_sel:WORD_0 src1_sel:DWORD
	v_sub_nc_u16 v1, v24, v2
	v_mul_lo_u16 v2, v18, 11
	v_mul_u32_u24_sdwa v18, v18, v33 dst_sel:DWORD dst_unused:UNUSED_PAD src0_sel:WORD_0 src1_sel:DWORD
	v_and_b32_e32 v20, 0xff, v1
	v_sub_nc_u16 v1, v19, v2
	v_lshlrev_b32_e32 v19, 3, v19
	v_lshlrev_b32_e32 v2, 3, v20
	v_and_b32_e32 v21, 0xff, v1
	v_add_lshl_u32 v34, v17, v20, 2
	global_load_dwordx2 v[9:10], v2, s[0:1]
	v_lshlrev_b32_e32 v1, 3, v21
	v_add_lshl_u32 v33, v18, v21, 2
	global_load_dwordx2 v[11:12], v1, s[0:1]
	v_mov_b32_e32 v1, 2
	v_mul_lo_u16 v2, 0xf9, v0
	v_lshlrev_b32_sdwa v25, v1, v24 dst_sel:DWORD dst_unused:UNUSED_PAD src0_sel:DWORD src1_sel:WORD_0
	v_lshrrev_b16 v22, 13, v2
	v_add_nc_u32_e32 v43, 0x200, v25
	v_add_nc_u32_e32 v44, 0x400, v25
	ds_read2_b32 v[0:1], v25 offset1:99
	ds_read2_b32 v[2:3], v43 offset0:70 offset1:169
	ds_read2_b32 v[13:14], v44 offset0:140 offset1:239
	v_mul_lo_u16 v15, v22, 33
	s_waitcnt vmcnt(0) lgkmcnt(0)
	s_barrier
	buffer_gl0_inv
	v_sub_nc_u16 v15, v24, v15
	v_and_b32_e32 v36, 0xff, v15
	v_mad_u64_u32 v[15:16], null, v36, 20, s[0:1]
	v_lshrrev_b32_e32 v35, 16, v0
	v_lshrrev_b32_e32 v38, 16, v2
	v_lshrrev_b32_e32 v39, 16, v13
	v_lshrrev_b32_e32 v40, 16, v3
	v_lshrrev_b32_e32 v41, 16, v14
	v_lshrrev_b32_e32 v37, 16, v1
	v_mul_f16_sdwa v17, v38, v9 dst_sel:DWORD dst_unused:UNUSED_PAD src0_sel:DWORD src1_sel:WORD_1
	v_mul_f16_sdwa v18, v2, v9 dst_sel:DWORD dst_unused:UNUSED_PAD src0_sel:DWORD src1_sel:WORD_1
	;; [unrolled: 1-line block ×4, first 2 shown]
	v_fma_f16 v2, v2, v9, -v17
	v_fmac_f16_e32 v18, v38, v9
	v_fma_f16 v13, v13, v10, -v20
	v_mul_f16_sdwa v17, v40, v11 dst_sel:DWORD dst_unused:UNUSED_PAD src0_sel:DWORD src1_sel:WORD_1
	v_mul_f16_sdwa v20, v3, v11 dst_sel:DWORD dst_unused:UNUSED_PAD src0_sel:DWORD src1_sel:WORD_1
	;; [unrolled: 1-line block ×4, first 2 shown]
	v_fmac_f16_e32 v21, v39, v10
	v_fma_f16 v3, v3, v11, -v17
	v_fmac_f16_e32 v20, v40, v11
	v_fma_f16 v14, v14, v12, -v38
	v_fmac_f16_e32 v42, v41, v12
	v_add_f16_e32 v17, v0, v2
	v_add_f16_e32 v38, v2, v13
	;; [unrolled: 1-line block ×3, first 2 shown]
	v_sub_f16_e32 v39, v18, v21
	v_add_f16_e32 v18, v18, v21
	v_sub_f16_e32 v2, v2, v13
	v_add_f16_e32 v13, v17, v13
	v_fma_f16 v0, -0.5, v38, v0
	v_add_f16_e32 v17, v40, v21
	v_add_f16_e32 v21, v3, v14
	v_sub_f16_e32 v38, v20, v42
	v_add_f16_e32 v40, v37, v20
	v_add_f16_e32 v20, v20, v42
	v_fmac_f16_e32 v35, -0.5, v18
	v_add_f16_e32 v18, v1, v3
	v_sub_f16_e32 v3, v3, v14
	v_fmac_f16_e32 v1, -0.5, v21
	v_fmac_f16_e32 v37, -0.5, v20
	v_fmamk_f16 v41, v39, 0x3aee, v0
	v_fmac_f16_e32 v0, 0xbaee, v39
	v_fmamk_f16 v39, v2, 0xbaee, v35
	v_fmac_f16_e32 v35, 0x3aee, v2
	v_add_f16_e32 v2, v18, v14
	v_add_f16_e32 v14, v40, v42
	v_pack_b32_f16 v13, v13, v17
	v_fmamk_f16 v17, v38, 0x3aee, v1
	v_fmamk_f16 v18, v3, 0xbaee, v37
	v_fmac_f16_e32 v1, 0xbaee, v38
	v_fmac_f16_e32 v37, 0x3aee, v3
	v_pack_b32_f16 v3, v41, v39
	v_pack_b32_f16 v0, v0, v35
	;; [unrolled: 1-line block ×5, first 2 shown]
	ds_write2_b32 v34, v13, v3 offset1:11
	ds_write_b32 v34, v0 offset:88
	ds_write2_b32 v33, v2, v14 offset1:11
	ds_write_b32 v33, v1 offset:88
	s_waitcnt lgkmcnt(0)
	s_barrier
	buffer_gl0_inv
	s_clause 0x1
	global_load_dwordx4 v[0:3], v[15:16], off offset:88
	global_load_dword v35, v[15:16], off offset:104
	ds_read2_b32 v[13:14], v25 offset1:99
	ds_read2_b32 v[15:16], v43 offset0:70 offset1:169
	ds_read2_b32 v[17:18], v44 offset0:140 offset1:239
	v_mov_b32_e32 v20, 0xc6
	v_lshlrev_b32_e32 v21, 3, v24
	s_waitcnt vmcnt(0) lgkmcnt(0)
	s_barrier
	buffer_gl0_inv
	v_mul_u32_u24_sdwa v20, v22, v20 dst_sel:DWORD dst_unused:UNUSED_PAD src0_sel:WORD_0 src1_sel:DWORD
	v_add_lshl_u32 v36, v20, v36, 2
	v_lshrrev_b32_e32 v22, 16, v14
	v_lshrrev_b32_e32 v37, 16, v15
	;; [unrolled: 1-line block ×6, first 2 shown]
	v_mul_f16_sdwa v42, v14, v0 dst_sel:DWORD dst_unused:UNUSED_PAD src0_sel:DWORD src1_sel:WORD_1
	v_mul_f16_sdwa v45, v37, v1 dst_sel:DWORD dst_unused:UNUSED_PAD src0_sel:DWORD src1_sel:WORD_1
	;; [unrolled: 1-line block ×10, first 2 shown]
	v_fmac_f16_e32 v42, v22, v0
	v_fma_f16 v15, v15, v1, -v45
	v_fmac_f16_e32 v46, v37, v1
	v_fma_f16 v16, v16, v2, -v47
	;; [unrolled: 2-line block ×5, first 2 shown]
	v_add_f16_e32 v37, v15, v17
	v_sub_f16_e32 v38, v46, v50
	v_add_f16_e32 v39, v20, v46
	v_add_f16_e32 v40, v46, v50
	v_add_f16_e32 v45, v16, v18
	v_sub_f16_e32 v46, v48, v52
	v_add_f16_e32 v47, v42, v48
	v_add_f16_e32 v48, v48, v52
	;; [unrolled: 1-line block ×3, first 2 shown]
	v_sub_f16_e32 v15, v15, v17
	v_add_f16_e32 v41, v14, v16
	v_sub_f16_e32 v16, v16, v18
	v_fmac_f16_e32 v13, -0.5, v37
	v_fmac_f16_e32 v20, -0.5, v40
	;; [unrolled: 1-line block ×4, first 2 shown]
	v_add_f16_e32 v17, v22, v17
	v_add_f16_e32 v22, v39, v50
	;; [unrolled: 1-line block ×3, first 2 shown]
	v_fmamk_f16 v39, v38, 0x3aee, v13
	v_fmac_f16_e32 v13, 0xbaee, v38
	v_fmamk_f16 v38, v15, 0xbaee, v20
	v_fmac_f16_e32 v20, 0x3aee, v15
	v_fmamk_f16 v15, v46, 0x3aee, v14
	v_fmamk_f16 v40, v16, 0xbaee, v42
	v_fmac_f16_e32 v14, 0xbaee, v46
	v_fmac_f16_e32 v42, 0x3aee, v16
	v_add_f16_e32 v16, v17, v18
	v_sub_f16_e32 v17, v17, v18
	v_mul_f16_e32 v18, 0x3aee, v40
	v_mul_f16_e32 v46, 0xbaee, v15
	v_add_f16_e32 v37, v47, v52
	v_mul_f16_e32 v45, -0.5, v14
	v_mul_f16_e32 v47, -0.5, v42
	v_fmac_f16_e32 v18, 0.5, v15
	v_fmac_f16_e32 v46, 0.5, v40
	v_add_f16_e32 v41, v22, v37
	v_fmac_f16_e32 v45, 0x3aee, v42
	v_fmac_f16_e32 v47, 0xbaee, v14
	v_sub_f16_e32 v22, v22, v37
	v_add_f16_e32 v15, v39, v18
	v_add_f16_e32 v37, v38, v46
	v_pack_b32_f16 v14, v16, v41
	v_add_f16_e32 v16, v13, v45
	v_add_f16_e32 v40, v20, v47
	v_sub_f16_e32 v18, v39, v18
	v_sub_f16_e32 v13, v13, v45
	;; [unrolled: 1-line block ×4, first 2 shown]
	v_pack_b32_f16 v15, v15, v37
	v_pack_b32_f16 v17, v17, v22
	;; [unrolled: 1-line block ×5, first 2 shown]
	ds_write2_b32 v36, v14, v15 offset1:33
	ds_write2_b32 v36, v16, v17 offset0:66 offset1:99
	ds_write2_b32 v36, v18, v13 offset0:132 offset1:165
	s_waitcnt lgkmcnt(0)
	s_barrier
	buffer_gl0_inv
	s_clause 0x1
	global_load_dwordx2 v[15:16], v21, s[0:1] offset:748
	global_load_dwordx2 v[13:14], v19, s[0:1] offset:748
	ds_read2_b32 v[19:20], v25 offset1:99
	ds_read2_b32 v[17:18], v43 offset0:70 offset1:169
	ds_read2_b32 v[21:22], v44 offset0:140 offset1:239
	s_waitcnt lgkmcnt(2)
	v_lshrrev_b32_e32 v38, 16, v20
	s_waitcnt lgkmcnt(1)
	v_lshrrev_b32_e32 v37, 16, v17
	s_waitcnt lgkmcnt(0)
	v_lshrrev_b32_e32 v40, 16, v21
	v_lshrrev_b32_e32 v41, 16, v18
	v_lshrrev_b32_e32 v42, 16, v22
	;; [unrolled: 1-line block ×3, first 2 shown]
	s_waitcnt vmcnt(1)
	v_mul_f16_sdwa v45, v37, v15 dst_sel:DWORD dst_unused:UNUSED_PAD src0_sel:DWORD src1_sel:WORD_1
	v_mul_f16_sdwa v46, v17, v15 dst_sel:DWORD dst_unused:UNUSED_PAD src0_sel:DWORD src1_sel:WORD_1
	;; [unrolled: 1-line block ×4, first 2 shown]
	s_waitcnt vmcnt(0)
	v_mul_f16_sdwa v49, v41, v13 dst_sel:DWORD dst_unused:UNUSED_PAD src0_sel:DWORD src1_sel:WORD_1
	v_mul_f16_sdwa v50, v18, v13 dst_sel:DWORD dst_unused:UNUSED_PAD src0_sel:DWORD src1_sel:WORD_1
	;; [unrolled: 1-line block ×4, first 2 shown]
	v_fma_f16 v17, v17, v15, -v45
	v_fmac_f16_e32 v46, v37, v15
	v_fma_f16 v21, v21, v16, -v47
	v_fmac_f16_e32 v48, v40, v16
	;; [unrolled: 2-line block ×4, first 2 shown]
	v_add_f16_e32 v37, v19, v17
	v_add_f16_e32 v40, v17, v21
	;; [unrolled: 1-line block ×4, first 2 shown]
	v_sub_f16_e32 v51, v50, v52
	v_add_f16_e32 v53, v38, v50
	v_add_f16_e32 v50, v50, v52
	;; [unrolled: 1-line block ×4, first 2 shown]
	v_sub_f16_e32 v41, v46, v48
	v_sub_f16_e32 v46, v17, v21
	;; [unrolled: 1-line block ×3, first 2 shown]
	v_add_f16_e32 v17, v37, v21
	v_fma_f16 v21, -0.5, v40, v19
	v_fmac_f16_e32 v39, -0.5, v45
	v_fmac_f16_e32 v20, -0.5, v49
	;; [unrolled: 1-line block ×3, first 2 shown]
	v_add_f16_e32 v37, v42, v48
	v_add_f16_e32 v22, v47, v22
	;; [unrolled: 1-line block ×3, first 2 shown]
	v_fmamk_f16 v18, v41, 0x3aee, v21
	v_fmac_f16_e32 v21, 0xbaee, v41
	v_fmamk_f16 v42, v46, 0xbaee, v39
	v_fmamk_f16 v19, v51, 0x3aee, v20
	;; [unrolled: 1-line block ×3, first 2 shown]
	v_fmac_f16_e32 v39, 0x3aee, v46
	v_fmac_f16_e32 v20, 0xbaee, v51
	;; [unrolled: 1-line block ×3, first 2 shown]
	v_pack_b32_f16 v45, v17, v37
	v_pack_b32_f16 v46, v22, v40
	;; [unrolled: 1-line block ×6, first 2 shown]
	ds_write2_b32 v25, v45, v46 offset1:99
	ds_write2_b32 v43, v47, v49 offset0:70 offset1:169
	ds_write2_b32 v44, v48, v50 offset0:140 offset1:239
	s_waitcnt lgkmcnt(0)
	s_barrier
	buffer_gl0_inv
	s_and_saveexec_b32 s1, vcc_lo
	s_cbranch_execz .LBB0_9
; %bb.8:
	v_add_co_u32 v45, s0, s10, v23
	v_add_co_ci_u32_e64 v46, null, s11, 0, s0
	v_add_nc_u32_e32 v63, 0x400, v23
	v_add_co_u32 v43, s0, 0x800, v45
	v_add_co_ci_u32_e64 v44, s0, 0, v46, s0
	v_add_nc_u32_e32 v64, 0x600, v23
	global_load_dword v47, v[43:44], off offset:328
	v_add_co_u32 v43, s0, 0x948, v45
	v_add_co_ci_u32_e64 v44, s0, 0, v46, s0
	v_add_co_u32 v45, s0, 0x1000, v45
	s_clause 0x4
	global_load_dword v53, v[43:44], off offset:216
	global_load_dword v54, v[43:44], off offset:432
	;; [unrolled: 1-line block ×5, first 2 shown]
	v_add_co_ci_u32_e64 v46, s0, 0, v46, s0
	s_clause 0x4
	global_load_dword v58, v[43:44], off offset:1296
	global_load_dword v59, v[43:44], off offset:1512
	;; [unrolled: 1-line block ×5, first 2 shown]
	ds_read_b32 v43, v25
	s_waitcnt lgkmcnt(0)
	v_lshrrev_b32_e32 v44, 16, v43
	s_waitcnt vmcnt(10)
	v_mul_f16_sdwa v45, v44, v47 dst_sel:DWORD dst_unused:UNUSED_PAD src0_sel:DWORD src1_sel:WORD_1
	v_mul_f16_sdwa v46, v43, v47 dst_sel:DWORD dst_unused:UNUSED_PAD src0_sel:DWORD src1_sel:WORD_1
	v_fma_f16 v43, v43, v47, -v45
	v_fmac_f16_e32 v46, v44, v47
	v_pack_b32_f16 v43, v43, v46
	ds_write_b32 v25, v43
	ds_read2_b32 v[43:44], v23 offset0:54 offset1:108
	ds_read2_b32 v[45:46], v23 offset0:162 offset1:216
	;; [unrolled: 1-line block ×5, first 2 shown]
	s_waitcnt lgkmcnt(3)
	v_lshrrev_b32_e32 v69, 16, v45
	v_lshrrev_b32_e32 v65, 16, v43
	s_waitcnt vmcnt(9)
	v_mul_f16_sdwa v66, v43, v53 dst_sel:DWORD dst_unused:UNUSED_PAD src0_sel:DWORD src1_sel:WORD_1
	v_lshrrev_b32_e32 v67, 16, v44
	s_waitcnt vmcnt(8)
	v_mul_f16_sdwa v68, v44, v54 dst_sel:DWORD dst_unused:UNUSED_PAD src0_sel:DWORD src1_sel:WORD_1
	s_waitcnt vmcnt(7)
	v_mul_f16_sdwa v70, v45, v55 dst_sel:DWORD dst_unused:UNUSED_PAD src0_sel:DWORD src1_sel:WORD_1
	v_lshrrev_b32_e32 v71, 16, v46
	s_waitcnt vmcnt(6)
	v_mul_f16_sdwa v72, v46, v56 dst_sel:DWORD dst_unused:UNUSED_PAD src0_sel:DWORD src1_sel:WORD_1
	s_waitcnt lgkmcnt(2)
	v_lshrrev_b32_e32 v73, 16, v47
	s_waitcnt vmcnt(5)
	v_mul_f16_sdwa v74, v47, v57 dst_sel:DWORD dst_unused:UNUSED_PAD src0_sel:DWORD src1_sel:WORD_1
	v_lshrrev_b32_e32 v75, 16, v48
	s_waitcnt vmcnt(4)
	v_mul_f16_sdwa v76, v48, v58 dst_sel:DWORD dst_unused:UNUSED_PAD src0_sel:DWORD src1_sel:WORD_1
	s_waitcnt lgkmcnt(1)
	v_lshrrev_b32_e32 v77, 16, v49
	;; [unrolled: 7-line block ×3, first 2 shown]
	s_waitcnt vmcnt(0)
	v_mul_f16_sdwa v82, v51, v62 dst_sel:DWORD dst_unused:UNUSED_PAD src0_sel:DWORD src1_sel:WORD_1
	v_lshrrev_b32_e32 v83, 16, v52
	v_mul_f16_sdwa v85, v65, v53 dst_sel:DWORD dst_unused:UNUSED_PAD src0_sel:DWORD src1_sel:WORD_1
	v_fmac_f16_e32 v66, v65, v53
	v_mul_f16_sdwa v65, v67, v54 dst_sel:DWORD dst_unused:UNUSED_PAD src0_sel:DWORD src1_sel:WORD_1
	v_fmac_f16_e32 v68, v67, v54
	;; [unrolled: 2-line block ×7, first 2 shown]
	v_mul_f16_sdwa v77, v79, v60 dst_sel:DWORD dst_unused:UNUSED_PAD src0_sel:DWORD src1_sel:WORD_1
	v_mul_f16_sdwa v84, v52, v61 dst_sel:DWORD dst_unused:UNUSED_PAD src0_sel:DWORD src1_sel:WORD_1
	v_fmac_f16_e32 v80, v79, v60
	v_mul_f16_sdwa v79, v81, v62 dst_sel:DWORD dst_unused:UNUSED_PAD src0_sel:DWORD src1_sel:WORD_1
	v_fmac_f16_e32 v82, v81, v62
	v_mul_f16_sdwa v81, v83, v61 dst_sel:DWORD dst_unused:UNUSED_PAD src0_sel:DWORD src1_sel:WORD_1
	v_fma_f16 v43, v43, v53, -v85
	v_fma_f16 v44, v44, v54, -v65
	;; [unrolled: 1-line block ×8, first 2 shown]
	v_fmac_f16_e32 v84, v83, v61
	v_fma_f16 v51, v51, v62, -v79
	v_fma_f16 v52, v52, v61, -v81
	v_pack_b32_f16 v43, v43, v66
	v_pack_b32_f16 v44, v44, v68
	;; [unrolled: 1-line block ×10, first 2 shown]
	ds_write2_b32 v23, v43, v44 offset0:54 offset1:108
	ds_write2_b32 v23, v45, v46 offset0:162 offset1:216
	;; [unrolled: 1-line block ×5, first 2 shown]
.LBB0_9:
	s_or_b32 exec_lo, exec_lo, s1
	s_waitcnt lgkmcnt(0)
	s_barrier
	buffer_gl0_inv
	s_and_saveexec_b32 s0, vcc_lo
	s_cbranch_execz .LBB0_11
; %bb.10:
	v_add_nc_u32_e32 v5, 0x200, v25
	v_add_nc_u32_e32 v7, 0x400, v25
	ds_read2_b32 v[17:18], v25 offset1:54
	ds_read2_b32 v[21:22], v25 offset0:108 offset1:162
	ds_read2_b32 v[19:20], v5 offset0:88 offset1:142
	;; [unrolled: 1-line block ×4, first 2 shown]
	ds_read_b32 v27, v25 offset:2160
	s_waitcnt lgkmcnt(4)
	v_lshrrev_b32_e32 v39, 16, v21
	v_lshrrev_b32_e32 v40, 16, v22
	;; [unrolled: 1-line block ×4, first 2 shown]
	s_waitcnt lgkmcnt(3)
	v_lshrrev_b32_e32 v41, 16, v19
	v_lshrrev_b32_e32 v38, 16, v20
	s_waitcnt lgkmcnt(2)
	v_lshrrev_b32_e32 v32, 16, v5
	v_lshrrev_b32_e32 v31, 16, v6
	;; [unrolled: 3-line block ×3, first 2 shown]
	s_waitcnt lgkmcnt(0)
	v_lshrrev_b32_e32 v29, 16, v27
.LBB0_11:
	s_or_b32 exec_lo, exec_lo, s0
	s_barrier
	buffer_gl0_inv
	s_and_saveexec_b32 s0, vcc_lo
	s_cbranch_execz .LBB0_13
; %bb.12:
	v_add_f16_e32 v43, v29, v42
	v_sub_f16_e32 v44, v18, v27
	v_add_f16_e32 v45, v28, v39
	v_sub_f16_e32 v46, v21, v8
	v_add_f16_e32 v47, v30, v40
	v_mul_f16_e32 v48, 0xbbad, v43
	v_sub_f16_e32 v49, v22, v7
	v_mul_f16_e32 v52, 0x3abb, v45
	v_sub_f16_e32 v55, v42, v29
	v_mul_f16_e32 v56, 0xb93d, v47
	v_fmamk_f16 v53, v44, 0x3482, v48
	v_add_f16_e32 v50, v31, v41
	v_fmamk_f16 v57, v46, 0xb853, v52
	v_add_f16_e32 v54, v27, v18
	v_sub_f16_e32 v58, v39, v28
	v_add_f16_e32 v53, v37, v53
	v_mul_f16_e32 v60, 0xb482, v55
	v_fmamk_f16 v61, v49, 0x3a0c, v56
	v_sub_f16_e32 v51, v19, v6
	v_mul_f16_e32 v59, 0x36a6, v50
	v_add_f16_e32 v53, v57, v53
	v_add_f16_e32 v57, v8, v21
	v_mul_f16_e32 v62, 0x3853, v58
	v_fmamk_f16 v63, v54, 0xbbad, v60
	v_fmamk_f16 v64, v51, 0xbb47, v59
	v_add_f16_e32 v53, v61, v53
	v_sub_f16_e32 v61, v40, v30
	v_add_f16_e32 v65, v32, v38
	v_add_f16_e32 v63, v17, v63
	v_fmamk_f16 v66, v57, 0x3abb, v62
	v_add_f16_e32 v67, v7, v22
	v_mul_f16_e32 v68, 0xba0c, v61
	v_sub_f16_e32 v70, v41, v31
	v_mul_f16_e32 v69, 0xb08e, v65
	v_sub_f16_e32 v71, v20, v5
	v_add_f16_e32 v63, v66, v63
	v_fmamk_f16 v66, v67, 0xb93d, v68
	v_add_f16_e32 v72, v6, v19
	v_mul_f16_e32 v73, 0x3b47, v70
	v_add_f16_e32 v53, v64, v53
	v_mul_f16_e32 v64, 0xb93d, v43
	v_fmamk_f16 v74, v71, 0x3beb, v69
	v_add_f16_e32 v63, v66, v63
	v_fmamk_f16 v66, v72, 0x36a6, v73
	v_mul_f16_e32 v76, 0xb08e, v45
	v_fmamk_f16 v75, v44, 0x3a0c, v64
	v_add_f16_e32 v53, v74, v53
	v_mul_f16_e32 v77, 0x3abb, v47
	v_add_f16_e32 v63, v66, v63
	v_sub_f16_e32 v66, v38, v32
	v_add_f16_e32 v74, v37, v75
	v_fmamk_f16 v75, v46, 0xbbeb, v76
	v_add_f16_e32 v78, v5, v20
	v_mul_f16_e32 v80, 0xba0c, v55
	v_mul_f16_e32 v79, 0xbbeb, v66
	;; [unrolled: 1-line block ×3, first 2 shown]
	v_add_f16_e32 v74, v75, v74
	v_fmamk_f16 v75, v49, 0x3853, v77
	v_fmamk_f16 v83, v54, 0xb93d, v80
	v_fmamk_f16 v82, v78, 0xb08e, v79
	v_mul_f16_e32 v84, 0x3beb, v58
	v_mul_f16_e32 v85, 0xb853, v61
	v_add_f16_e32 v74, v75, v74
	v_fmamk_f16 v75, v51, 0x3482, v81
	v_add_f16_e32 v63, v82, v63
	v_add_f16_e32 v82, v17, v83
	v_fmamk_f16 v83, v57, 0xb08e, v84
	v_mul_f16_e32 v86, 0xb08e, v43
	v_add_f16_e32 v74, v75, v74
	v_mul_f16_e32 v75, 0x36a6, v65
	v_mul_f16_e32 v87, 0xb482, v70
	v_add_f16_e32 v82, v83, v82
	v_fmamk_f16 v83, v67, 0x3abb, v85
	v_fmamk_f16 v89, v44, 0x3beb, v86
	v_fmamk_f16 v88, v71, 0xbb47, v75
	v_mul_f16_e32 v90, 0xbbad, v45
	v_mul_f16_e32 v91, 0x36a6, v47
	v_add_f16_e32 v82, v83, v82
	v_fmamk_f16 v83, v72, 0xbbad, v87
	v_add_f16_e32 v74, v88, v74
	v_add_f16_e32 v88, v37, v89
	v_fmamk_f16 v89, v46, 0xb482, v90
	v_mul_f16_e32 v92, 0xbbeb, v55
	v_add_f16_e32 v82, v83, v82
	v_mul_f16_e32 v83, 0x3b47, v66
	v_mul_f16_e32 v93, 0x3abb, v50
	;; [unrolled: 15-line block ×4, first 2 shown]
	v_add_f16_e32 v100, v101, v100
	v_fmamk_f16 v101, v49, 0xb482, v103
	v_fmamk_f16 v107, v54, 0x36a6, v104
	v_mul_f16_e32 v108, 0xba0c, v58
	v_fmamk_f16 v106, v78, 0xb93d, v95
	v_mul_f16_e32 v109, 0x3abb, v65
	v_add_f16_e32 v100, v101, v100
	v_fmamk_f16 v101, v51, 0xbbeb, v105
	v_add_f16_e32 v107, v17, v107
	v_fmamk_f16 v110, v57, 0xb93d, v108
	v_mul_f16_e32 v111, 0x3482, v61
	v_mul_f16_e32 v43, 0x3abb, v43
	v_add_f16_e32 v94, v106, v94
	v_add_f16_e32 v100, v101, v100
	v_fmamk_f16 v101, v71, 0xb853, v109
	v_add_f16_e32 v106, v110, v107
	v_fmamk_f16 v107, v67, 0xbbad, v111
	v_fmamk_f16 v110, v44, 0x3853, v43
	v_mul_f16_e32 v45, 0x36a6, v45
	v_add_f16_e32 v18, v18, v17
	v_add_f16_e32 v100, v101, v100
	;; [unrolled: 1-line block ×4, first 2 shown]
	v_fmamk_f16 v107, v46, 0x3b47, v45
	v_mul_f16_e32 v47, 0xb08e, v47
	v_add_f16_e32 v18, v21, v18
	v_add_f16_e32 v42, v42, v37
	v_mul_f16_e32 v50, 0xb93d, v50
	v_add_f16_e32 v106, v107, v106
	v_fmamk_f16 v107, v49, 0x3beb, v47
	v_mul_f16_e32 v55, 0xb853, v55
	v_add_f16_e32 v18, v22, v18
	v_add_f16_e32 v39, v39, v42
	v_mul_f16_e32 v58, 0xbb47, v58
	v_add_f16_e32 v106, v107, v106
	v_fmamk_f16 v107, v51, 0x3a0c, v50
	v_fmamk_f16 v42, v54, 0x3abb, v55
	v_mul_f16_e32 v65, 0xbbad, v65
	v_add_f16_e32 v18, v19, v18
	v_add_f16_e32 v19, v40, v39
	;; [unrolled: 1-line block ×4, first 2 shown]
	v_fmamk_f16 v40, v57, 0x36a6, v58
	v_mul_f16_e32 v42, 0xbbeb, v61
	v_add_f16_e32 v18, v20, v18
	v_add_f16_e32 v19, v41, v19
	v_fmamk_f16 v20, v71, 0x3482, v65
	v_add_f16_e32 v39, v40, v39
	v_fmamk_f16 v40, v67, 0xb08e, v42
	v_add_f16_e32 v5, v5, v18
	v_add_f16_e32 v18, v38, v19
	;; [unrolled: 1-line block ×3, first 2 shown]
	v_mul_f16_e32 v20, 0xba0c, v70
	v_add_f16_e32 v22, v40, v39
	v_add_f16_e32 v5, v6, v5
	;; [unrolled: 1-line block ×3, first 2 shown]
	v_mul_f16_e32 v32, 0xb482, v66
	v_fmamk_f16 v18, v72, 0xb93d, v20
	v_fmac_f16_e32 v64, 0xba0c, v44
	v_add_f16_e32 v5, v7, v5
	v_add_f16_e32 v6, v31, v6
	v_fmac_f16_e32 v76, 0x3beb, v46
	v_add_f16_e32 v18, v18, v22
	v_fmamk_f16 v22, v78, 0xbbad, v32
	v_add_f16_e32 v5, v8, v5
	v_add_f16_e32 v6, v30, v6
	v_fmac_f16_e32 v77, 0xb853, v49
	v_fmac_f16_e32 v81, 0xb482, v51
	v_add_f16_e32 v8, v22, v18
	v_fma_f16 v18, v54, 0xbbad, -v60
	v_fma_f16 v22, v57, 0x3abb, -v62
	v_add_f16_e32 v5, v27, v5
	v_add_f16_e32 v6, v28, v6
	;; [unrolled: 1-line block ×4, first 2 shown]
	v_fma_f16 v28, v54, 0xb93d, -v80
	v_fmac_f16_e32 v86, 0xbbeb, v44
	v_add_f16_e32 v6, v29, v6
	v_add_f16_e32 v27, v76, v27
	;; [unrolled: 1-line block ×3, first 2 shown]
	v_fma_f16 v22, v67, 0xb93d, -v68
	v_add_f16_e32 v28, v17, v28
	v_fma_f16 v29, v57, 0xb08e, -v84
	v_add_f16_e32 v27, v77, v27
	v_fmac_f16_e32 v90, 0x3482, v46
	v_add_f16_e32 v18, v22, v18
	v_fma_f16 v22, v72, 0x36a6, -v73
	v_add_f16_e32 v28, v29, v28
	v_fma_f16 v29, v67, 0x3abb, -v85
	v_fma_f16 v30, v54, 0xb08e, -v92
	v_fmac_f16_e32 v91, 0x3b47, v49
	v_add_f16_e32 v18, v22, v18
	v_fma_f16 v22, v78, 0xb08e, -v79
	v_fma_f16 v31, v57, 0xbbad, -v96
	v_add_f16_e32 v30, v17, v30
	v_fmac_f16_e32 v98, 0xbb47, v44
	v_fmac_f16_e32 v102, 0xba0c, v46
	v_add_f16_e32 v18, v22, v18
	v_add_f16_e32 v22, v81, v27
	v_add_f16_e32 v27, v29, v28
	v_fma_f16 v28, v72, 0xbbad, -v87
	v_add_f16_e32 v29, v37, v86
	v_fmac_f16_e32 v103, 0x3482, v49
	v_fmac_f16_e32 v105, 0x3beb, v51
	v_fma_f16 v38, v54, 0x36a6, -v104
	v_add_f16_e32 v27, v28, v27
	v_fma_f16 v28, v78, 0x36a6, -v83
	v_add_f16_e32 v29, v90, v29
	v_fmac_f16_e32 v48, 0xb482, v44
	v_fmac_f16_e32 v43, 0xb853, v44
	v_add_f16_e32 v38, v17, v38
	v_add_f16_e32 v27, v28, v27
	;; [unrolled: 1-line block ×4, first 2 shown]
	v_fma_f16 v30, v67, 0x36a6, -v97
	v_add_f16_e32 v31, v37, v98
	v_fma_f16 v39, v57, 0xb93d, -v108
	v_add_f16_e32 v7, v37, v48
	v_fmac_f16_e32 v52, 0x3853, v46
	v_add_f16_e32 v29, v30, v29
	v_fma_f16 v30, v72, 0x3abb, -v99
	v_add_f16_e32 v31, v102, v31
	v_add_f16_e32 v37, v37, v43
	v_fmac_f16_e32 v45, 0xbb47, v46
	v_mul_f16_e32 v112, 0x3beb, v70
	v_add_f16_e32 v29, v30, v29
	v_fma_f16 v30, v78, 0xb93d, -v95
	v_add_f16_e32 v31, v103, v31
	v_add_f16_e32 v38, v39, v38
	v_fma_f16 v39, v67, 0xbbad, -v111
	v_add_f16_e32 v7, v52, v7
	v_add_f16_e32 v29, v30, v29
	;; [unrolled: 1-line block ×3, first 2 shown]
	v_fma_f16 v31, v54, 0x3abb, -v55
	v_fmac_f16_e32 v56, 0xba0c, v49
	v_add_f16_e32 v37, v45, v37
	v_fmac_f16_e32 v47, 0xbbeb, v49
	v_fmamk_f16 v110, v72, 0xb08e, v112
	v_add_f16_e32 v17, v17, v31
	v_fma_f16 v31, v57, 0x36a6, -v58
	v_mul_f16_e32 v113, 0x3853, v66
	v_add_f16_e32 v38, v39, v38
	v_fma_f16 v39, v72, 0xb08e, -v112
	v_add_f16_e32 v7, v56, v7
	v_add_f16_e32 v17, v31, v17
	v_fma_f16 v31, v67, 0xb08e, -v42
	v_fmac_f16_e32 v59, 0x3b47, v51
	v_fmac_f16_e32 v93, 0xb853, v51
	v_add_f16_e32 v37, v47, v37
	v_fmac_f16_e32 v50, 0xba0c, v51
	v_add_f16_e32 v17, v31, v17
	v_fma_f16 v20, v72, 0xb93d, -v20
	v_add_f16_e32 v101, v110, v101
	v_fmamk_f16 v21, v78, 0x3abb, v113
	v_add_f16_e32 v38, v39, v38
	v_mov_b32_e32 v39, 2
	v_add_f16_e32 v7, v59, v7
	v_fmac_f16_e32 v69, 0xbbeb, v71
	v_fmac_f16_e32 v75, 0x3b47, v71
	v_add_f16_e32 v28, v93, v28
	v_fmac_f16_e32 v89, 0xba0c, v71
	v_fmac_f16_e32 v109, 0x3853, v71
	v_fma_f16 v31, v78, 0x3abb, -v113
	v_add_f16_e32 v37, v50, v37
	v_fmac_f16_e32 v65, 0xb482, v71
	v_add_f16_e32 v17, v20, v17
	v_fma_f16 v20, v78, 0xbbad, -v32
	v_add_f16_e32 v21, v21, v101
	v_lshlrev_b32_sdwa v26, v39, v26 dst_sel:DWORD dst_unused:UNUSED_PAD src0_sel:DWORD src1_sel:WORD_0
	v_pack_b32_f16 v8, v8, v19
	v_pack_b32_f16 v5, v5, v6
	v_add_f16_e32 v7, v69, v7
	v_add_f16_e32 v22, v75, v22
	;; [unrolled: 1-line block ×7, first 2 shown]
	ds_write2_b32 v26, v5, v8 offset1:1
	v_pack_b32_f16 v5, v94, v88
	v_pack_b32_f16 v8, v21, v100
	;; [unrolled: 1-line block ×9, first 2 shown]
	ds_write2_b32 v26, v8, v5 offset0:2 offset1:3
	ds_write2_b32 v26, v21, v20 offset0:4 offset1:5
	ds_write2_b32 v26, v7, v22 offset0:6 offset1:7
	ds_write2_b32 v26, v18, v6 offset0:8 offset1:9
	ds_write_b32 v26, v17 offset:40
.LBB0_13:
	s_or_b32 exec_lo, exec_lo, s0
	v_add_nc_u32_e32 v19, 0x200, v25
	v_add_nc_u32_e32 v20, 0x400, v25
	s_waitcnt lgkmcnt(0)
	s_barrier
	buffer_gl0_inv
	ds_read2_b32 v[5:6], v25 offset1:99
	ds_read2_b32 v[7:8], v19 offset0:70 offset1:169
	ds_read2_b32 v[17:18], v20 offset0:140 offset1:239
	s_waitcnt lgkmcnt(0)
	s_barrier
	buffer_gl0_inv
	v_lshrrev_b32_e32 v21, 16, v5
	v_lshrrev_b32_e32 v26, 16, v7
	v_lshrrev_b32_e32 v27, 16, v17
	v_mul_f16_sdwa v30, v9, v7 dst_sel:DWORD dst_unused:UNUSED_PAD src0_sel:WORD_1 src1_sel:DWORD
	v_lshrrev_b32_e32 v28, 16, v8
	v_lshrrev_b32_e32 v29, 16, v18
	v_mul_f16_sdwa v31, v10, v17 dst_sel:DWORD dst_unused:UNUSED_PAD src0_sel:WORD_1 src1_sel:DWORD
	v_mul_f16_sdwa v32, v11, v8 dst_sel:DWORD dst_unused:UNUSED_PAD src0_sel:WORD_1 src1_sel:DWORD
	;; [unrolled: 1-line block ×3, first 2 shown]
	v_fma_f16 v26, v9, v26, -v30
	v_mul_f16_sdwa v30, v10, v27 dst_sel:DWORD dst_unused:UNUSED_PAD src0_sel:WORD_1 src1_sel:DWORD
	v_mul_f16_sdwa v37, v12, v18 dst_sel:DWORD dst_unused:UNUSED_PAD src0_sel:WORD_1 src1_sel:DWORD
	v_fma_f16 v27, v10, v27, -v31
	v_mul_f16_sdwa v31, v11, v28 dst_sel:DWORD dst_unused:UNUSED_PAD src0_sel:WORD_1 src1_sel:DWORD
	v_fma_f16 v28, v11, v28, -v32
	v_mul_f16_sdwa v32, v12, v29 dst_sel:DWORD dst_unused:UNUSED_PAD src0_sel:WORD_1 src1_sel:DWORD
	v_fmac_f16_e32 v38, v9, v7
	v_fmac_f16_e32 v30, v10, v17
	v_fma_f16 v29, v12, v29, -v37
	v_fmac_f16_e32 v31, v11, v8
	v_fmac_f16_e32 v32, v12, v18
	v_add_f16_e32 v8, v21, v26
	v_add_f16_e32 v9, v26, v27
	v_add_f16_e32 v18, v38, v30
	v_lshrrev_b32_e32 v22, 16, v6
	v_sub_f16_e32 v7, v26, v27
	v_add_f16_e32 v12, v28, v29
	v_add_f16_e32 v17, v5, v38
	;; [unrolled: 1-line block ×3, first 2 shown]
	v_fmac_f16_e32 v21, -0.5, v9
	v_sub_f16_e32 v9, v38, v30
	v_add_f16_e32 v27, v31, v32
	v_fma_f16 v5, -0.5, v18, v5
	v_sub_f16_e32 v10, v28, v29
	v_add_f16_e32 v11, v22, v28
	v_add_f16_e32 v26, v6, v31
	v_fmac_f16_e32 v22, -0.5, v12
	v_add_f16_e32 v12, v17, v30
	v_fmamk_f16 v17, v9, 0x3aee, v21
	v_fmac_f16_e32 v21, 0xbaee, v9
	v_fmac_f16_e32 v6, -0.5, v27
	v_fmamk_f16 v9, v7, 0xbaee, v5
	v_fmac_f16_e32 v5, 0x3aee, v7
	v_sub_f16_e32 v7, v31, v32
	v_add_f16_e32 v18, v26, v32
	v_fmamk_f16 v26, v10, 0xbaee, v6
	v_fmac_f16_e32 v6, 0x3aee, v10
	v_add_f16_e32 v10, v11, v29
	v_fmamk_f16 v11, v7, 0x3aee, v22
	v_fmac_f16_e32 v22, 0xbaee, v7
	v_pack_b32_f16 v7, v12, v8
	v_pack_b32_f16 v8, v9, v17
	v_pack_b32_f16 v5, v5, v21
	v_pack_b32_f16 v9, v18, v10
	v_pack_b32_f16 v10, v26, v11
	v_pack_b32_f16 v6, v6, v22
	ds_write2_b32 v34, v7, v8 offset1:11
	ds_write_b32 v34, v5 offset:88
	ds_write2_b32 v33, v9, v10 offset1:11
	ds_write_b32 v33, v6 offset:88
	s_waitcnt lgkmcnt(0)
	s_barrier
	buffer_gl0_inv
	ds_read2_b32 v[5:6], v25 offset1:99
	ds_read2_b32 v[7:8], v19 offset0:70 offset1:169
	ds_read2_b32 v[9:10], v20 offset0:140 offset1:239
	s_waitcnt lgkmcnt(0)
	s_barrier
	buffer_gl0_inv
	v_lshrrev_b32_e32 v12, 16, v6
	v_lshrrev_b32_e32 v17, 16, v7
	;; [unrolled: 1-line block ×3, first 2 shown]
	v_mul_f16_sdwa v22, v0, v6 dst_sel:DWORD dst_unused:UNUSED_PAD src0_sel:WORD_1 src1_sel:DWORD
	v_lshrrev_b32_e32 v18, 16, v8
	v_mul_f16_sdwa v27, v0, v12 dst_sel:DWORD dst_unused:UNUSED_PAD src0_sel:WORD_1 src1_sel:DWORD
	v_mul_f16_sdwa v28, v1, v17 dst_sel:DWORD dst_unused:UNUSED_PAD src0_sel:WORD_1 src1_sel:DWORD
	v_lshrrev_b32_e32 v26, 16, v10
	v_fma_f16 v12, v0, v12, -v22
	v_mul_f16_sdwa v29, v1, v7 dst_sel:DWORD dst_unused:UNUSED_PAD src0_sel:WORD_1 src1_sel:DWORD
	v_fmac_f16_e32 v27, v0, v6
	v_mul_f16_sdwa v0, v3, v21 dst_sel:DWORD dst_unused:UNUSED_PAD src0_sel:WORD_1 src1_sel:DWORD
	v_mul_f16_sdwa v22, v2, v18 dst_sel:DWORD dst_unused:UNUSED_PAD src0_sel:WORD_1 src1_sel:DWORD
	v_fmac_f16_e32 v28, v1, v7
	v_mul_f16_sdwa v6, v2, v8 dst_sel:DWORD dst_unused:UNUSED_PAD src0_sel:WORD_1 src1_sel:DWORD
	v_mul_f16_sdwa v7, v3, v9 dst_sel:DWORD dst_unused:UNUSED_PAD src0_sel:WORD_1 src1_sel:DWORD
	v_fmac_f16_e32 v0, v3, v9
	v_fma_f16 v1, v1, v17, -v29
	v_fmac_f16_e32 v22, v2, v8
	v_mul_f16_sdwa v8, v35, v26 dst_sel:DWORD dst_unused:UNUSED_PAD src0_sel:WORD_1 src1_sel:DWORD
	v_fma_f16 v2, v2, v18, -v6
	v_mul_f16_sdwa v6, v35, v10 dst_sel:DWORD dst_unused:UNUSED_PAD src0_sel:WORD_1 src1_sel:DWORD
	v_fma_f16 v3, v3, v21, -v7
	v_add_f16_e32 v7, v28, v0
	v_lshrrev_b32_e32 v11, 16, v5
	v_fmac_f16_e32 v8, v35, v10
	v_add_f16_e32 v9, v5, v28
	v_fma_f16 v6, v35, v26, -v6
	v_add_f16_e32 v10, v1, v3
	v_fmac_f16_e32 v5, -0.5, v7
	v_sub_f16_e32 v7, v1, v3
	v_add_f16_e32 v1, v11, v1
	v_add_f16_e32 v9, v9, v0
	v_fmac_f16_e32 v11, -0.5, v10
	v_sub_f16_e32 v0, v28, v0
	v_fmamk_f16 v10, v7, 0xbaee, v5
	v_fmac_f16_e32 v5, 0x3aee, v7
	v_add_f16_e32 v7, v2, v6
	v_add_f16_e32 v17, v22, v8
	;; [unrolled: 1-line block ×4, first 2 shown]
	v_fmamk_f16 v3, v0, 0x3aee, v11
	v_fmac_f16_e32 v12, -0.5, v7
	v_sub_f16_e32 v7, v22, v8
	v_add_f16_e32 v21, v27, v22
	v_fmac_f16_e32 v27, -0.5, v17
	v_sub_f16_e32 v2, v2, v6
	v_fmac_f16_e32 v11, 0xbaee, v0
	v_fmamk_f16 v0, v7, 0x3aee, v12
	v_fmac_f16_e32 v12, 0xbaee, v7
	v_add_f16_e32 v7, v21, v8
	v_fmamk_f16 v8, v2, 0xbaee, v27
	v_fmac_f16_e32 v27, 0x3aee, v2
	v_mul_f16_e32 v2, 0xbaee, v0
	v_mul_f16_e32 v0, 0.5, v0
	v_mul_f16_e32 v17, 0xbaee, v12
	v_mul_f16_e32 v12, -0.5, v12
	v_add_f16_e32 v6, v18, v6
	v_fmac_f16_e32 v2, 0.5, v8
	v_fmac_f16_e32 v0, 0x3aee, v8
	v_fmac_f16_e32 v17, -0.5, v27
	v_fmac_f16_e32 v12, 0x3aee, v27
	v_add_f16_e32 v18, v9, v7
	v_add_f16_e32 v8, v10, v2
	;; [unrolled: 1-line block ×6, first 2 shown]
	v_sub_f16_e32 v7, v9, v7
	v_sub_f16_e32 v1, v1, v6
	;; [unrolled: 1-line block ×6, first 2 shown]
	v_pack_b32_f16 v6, v18, v22
	v_pack_b32_f16 v8, v8, v26
	;; [unrolled: 1-line block ×6, first 2 shown]
	ds_write2_b32 v36, v6, v8 offset1:33
	ds_write2_b32 v36, v9, v1 offset0:66 offset1:99
	ds_write2_b32 v36, v0, v2 offset0:132 offset1:165
	s_waitcnt lgkmcnt(0)
	s_barrier
	buffer_gl0_inv
	ds_read2_b32 v[0:1], v19 offset0:70 offset1:169
	ds_read2_b32 v[2:3], v25 offset1:99
	ds_read2_b32 v[5:6], v20 offset0:140 offset1:239
	s_waitcnt lgkmcnt(2)
	v_lshrrev_b32_e32 v7, 16, v0
	v_lshrrev_b32_e32 v12, 16, v1
	s_waitcnt lgkmcnt(0)
	v_lshrrev_b32_e32 v9, 16, v5
	v_mul_f16_sdwa v17, v15, v0 dst_sel:DWORD dst_unused:UNUSED_PAD src0_sel:WORD_1 src1_sel:DWORD
	v_lshrrev_b32_e32 v18, 16, v6
	v_mul_f16_sdwa v11, v15, v7 dst_sel:DWORD dst_unused:UNUSED_PAD src0_sel:WORD_1 src1_sel:DWORD
	;; [unrolled: 2-line block ×3, first 2 shown]
	v_fma_f16 v7, v15, v7, -v17
	v_lshrrev_b32_e32 v10, 16, v3
	v_fmac_f16_e32 v11, v15, v0
	v_mul_f16_sdwa v0, v16, v5 dst_sel:DWORD dst_unused:UNUSED_PAD src0_sel:WORD_1 src1_sel:DWORD
	v_fmac_f16_e32 v21, v16, v5
	v_mul_f16_sdwa v5, v13, v1 dst_sel:DWORD dst_unused:UNUSED_PAD src0_sel:WORD_1 src1_sel:DWORD
	v_mul_f16_sdwa v15, v13, v12 dst_sel:DWORD dst_unused:UNUSED_PAD src0_sel:WORD_1 src1_sel:DWORD
	v_fma_f16 v0, v16, v9, -v0
	v_mul_f16_sdwa v9, v14, v18 dst_sel:DWORD dst_unused:UNUSED_PAD src0_sel:WORD_1 src1_sel:DWORD
	v_fma_f16 v5, v13, v12, -v5
	v_add_f16_e32 v12, v11, v21
	v_fmac_f16_e32 v15, v13, v1
	v_mul_f16_sdwa v1, v14, v6 dst_sel:DWORD dst_unused:UNUSED_PAD src0_sel:WORD_1 src1_sel:DWORD
	v_add_f16_e32 v13, v7, v0
	v_fmac_f16_e32 v9, v14, v6
	v_add_f16_e32 v6, v2, v11
	v_fma_f16 v2, -0.5, v12, v2
	v_sub_f16_e32 v12, v7, v0
	v_add_f16_e32 v7, v8, v7
	v_fma_f16 v1, v14, v18, -v1
	v_fmac_f16_e32 v8, -0.5, v13
	v_sub_f16_e32 v11, v11, v21
	v_fmamk_f16 v13, v12, 0xbaee, v2
	v_add_f16_e32 v0, v7, v0
	v_add_f16_e32 v7, v15, v9
	v_fmac_f16_e32 v2, 0x3aee, v12
	v_fmamk_f16 v12, v11, 0x3aee, v8
	v_fmac_f16_e32 v8, 0xbaee, v11
	v_add_f16_e32 v11, v5, v1
	v_add_f16_e32 v14, v3, v15
	v_fmac_f16_e32 v3, -0.5, v7
	v_sub_f16_e32 v7, v5, v1
	v_add_f16_e32 v5, v10, v5
	v_fmac_f16_e32 v10, -0.5, v11
	v_sub_f16_e32 v11, v15, v9
	v_add_f16_e32 v6, v6, v21
	v_add_f16_e32 v9, v14, v9
	;; [unrolled: 1-line block ×3, first 2 shown]
	v_fmamk_f16 v14, v7, 0xbaee, v3
	v_fmamk_f16 v5, v11, 0x3aee, v10
	v_fmac_f16_e32 v3, 0x3aee, v7
	v_fmac_f16_e32 v10, 0xbaee, v11
	v_pack_b32_f16 v0, v6, v0
	v_pack_b32_f16 v1, v9, v1
	;; [unrolled: 1-line block ×6, first 2 shown]
	ds_write2_b32 v25, v0, v1 offset1:99
	ds_write2_b32 v19, v6, v5 offset0:70 offset1:169
	ds_write2_b32 v20, v2, v3 offset0:140 offset1:239
	s_waitcnt lgkmcnt(0)
	s_barrier
	buffer_gl0_inv
	s_and_b32 exec_lo, exec_lo, vcc_lo
	s_cbranch_execz .LBB0_15
; %bb.14:
	s_clause 0x5
	global_load_dword v2, v23, s[10:11]
	global_load_dword v5, v23, s[10:11] offset:216
	global_load_dword v7, v23, s[10:11] offset:432
	;; [unrolled: 1-line block ×5, first 2 shown]
	v_mad_u64_u32 v[14:15], null, s6, v4, 0
	v_mad_u64_u32 v[16:17], null, s4, v24, 0
	ds_read_b32 v22, v25
	ds_read2_b32 v[18:19], v23 offset0:54 offset1:108
	v_add_co_u32 v12, s0, s10, v23
	v_mov_b32_e32 v8, v15
	v_add_co_ci_u32_e64 v27, null, s11, 0, s0
	v_mov_b32_e32 v10, v17
	v_add_nc_u32_e32 v3, 0x400, v23
	ds_read2_b32 v[20:21], v23 offset0:162 offset1:216
	global_load_dword v6, v23, s[10:11] offset:1296
	s_mov_b32 s18, 0x2b18ff23
	s_mov_b32 s19, 0x3f5b951e
	ds_read2_b32 v[0:1], v3 offset0:14 offset1:68
	s_mul_i32 s0, s5, 0xd8
	s_mul_hi_u32 s20, s4, 0xd8
	s_mul_i32 s17, s4, 0xd8
	s_add_i32 s20, s20, s0
	s_waitcnt lgkmcnt(0)
	v_lshrrev_b32_e32 v40, 16, v0
	s_waitcnt vmcnt(5)
	v_mul_f16_sdwa v30, v18, v5 dst_sel:DWORD dst_unused:UNUSED_PAD src0_sel:DWORD src1_sel:WORD_1
	s_waitcnt vmcnt(4)
	v_mul_f16_sdwa v32, v19, v7 dst_sel:DWORD dst_unused:UNUSED_PAD src0_sel:DWORD src1_sel:WORD_1
	s_waitcnt vmcnt(3)
	v_mad_u64_u32 v[25:26], null, s7, v4, v[8:9]
	s_waitcnt vmcnt(2)
	v_mad_u64_u32 v[28:29], null, s5, v24, v[10:11]
	v_add_co_u32 v26, vcc_lo, 0x800, v12
	v_add_co_ci_u32_e32 v27, vcc_lo, 0, v27, vcc_lo
	v_mov_b32_e32 v15, v25
	v_lshrrev_b32_e32 v24, 16, v22
	v_mov_b32_e32 v17, v28
	v_lshrrev_b32_e32 v25, 16, v18
	s_clause 0x2
	global_load_dword v12, v23, s[10:11] offset:1512
	global_load_dword v10, v23, s[10:11] offset:1728
	;; [unrolled: 1-line block ×3, first 2 shown]
	v_lshlrev_b64 v[14:15], 2, v[14:15]
	global_load_dword v4, v[26:27], off offset:112
	v_lshlrev_b64 v[16:17], 2, v[16:17]
	v_lshrrev_b32_e32 v26, 16, v19
	v_mul_f16_sdwa v29, v25, v5 dst_sel:DWORD dst_unused:UNUSED_PAD src0_sel:DWORD src1_sel:WORD_1
	v_lshrrev_b32_e32 v27, 16, v20
	v_add_co_u32 v14, vcc_lo, s8, v14
	v_add_co_ci_u32_e32 v15, vcc_lo, s9, v15, vcc_lo
	v_lshrrev_b32_e32 v28, 16, v21
	v_add_co_u32 v14, vcc_lo, v14, v16
	v_mul_f16_sdwa v16, v24, v2 dst_sel:DWORD dst_unused:UNUSED_PAD src0_sel:DWORD src1_sel:WORD_1
	v_add_co_ci_u32_e32 v15, vcc_lo, v15, v17, vcc_lo
	v_mul_f16_sdwa v17, v22, v2 dst_sel:DWORD dst_unused:UNUSED_PAD src0_sel:DWORD src1_sel:WORD_1
	v_mul_f16_sdwa v31, v26, v7 dst_sel:DWORD dst_unused:UNUSED_PAD src0_sel:DWORD src1_sel:WORD_1
	v_fmac_f16_e32 v16, v22, v2
	v_fmac_f16_e32 v29, v18, v5
	v_mul_f16_sdwa v33, v27, v9 dst_sel:DWORD dst_unused:UNUSED_PAD src0_sel:DWORD src1_sel:WORD_1
	v_fma_f16 v2, v2, v24, -v17
	v_mul_f16_sdwa v35, v28, v11 dst_sel:DWORD dst_unused:UNUSED_PAD src0_sel:DWORD src1_sel:WORD_1
	v_cvt_f32_f16_e32 v16, v16
	v_fma_f16 v5, v5, v25, -v30
	v_fmac_f16_e32 v31, v19, v7
	v_cvt_f32_f16_e32 v2, v2
	v_mul_f16_sdwa v34, v20, v9 dst_sel:DWORD dst_unused:UNUSED_PAD src0_sel:DWORD src1_sel:WORD_1
	v_cvt_f64_f32_e32 v[16:17], v16
	v_mul_f16_sdwa v36, v21, v11 dst_sel:DWORD dst_unused:UNUSED_PAD src0_sel:DWORD src1_sel:WORD_1
	s_waitcnt vmcnt(5)
	v_mul_f16_sdwa v37, v40, v13 dst_sel:DWORD dst_unused:UNUSED_PAD src0_sel:DWORD src1_sel:WORD_1
	v_cvt_f64_f32_e32 v[18:19], v2
	v_cvt_f32_f16_e32 v2, v29
	v_fmac_f16_e32 v33, v20, v9
	v_fmac_f16_e32 v35, v21, v11
	v_cvt_f32_f16_e32 v5, v5
	v_mul_f16_sdwa v41, v0, v13 dst_sel:DWORD dst_unused:UNUSED_PAD src0_sel:DWORD src1_sel:WORD_1
	v_cvt_f64_f32_e32 v[20:21], v2
	v_fma_f16 v7, v7, v26, -v32
	v_fmac_f16_e32 v37, v0, v13
	v_cvt_f32_f16_e32 v0, v31
	v_cvt_f64_f32_e32 v[24:25], v5
	v_fma_f16 v9, v9, v27, -v34
	v_cvt_f32_f16_e32 v7, v7
	v_fma_f16 v11, v11, v28, -v36
	v_cvt_f64_f32_e32 v[26:27], v0
	v_cvt_f32_f16_e32 v2, v33
	v_cvt_f32_f16_e32 v5, v9
	v_cvt_f64_f32_e32 v[28:29], v7
	v_fma_f16 v0, v13, v40, -v41
	v_mul_f64 v[16:17], v[16:17], s[18:19]
	v_cvt_f64_f32_e32 v[30:31], v2
	v_cvt_f32_f16_e32 v9, v35
	v_mul_f64 v[18:19], v[18:19], s[18:19]
	v_cvt_f64_f32_e32 v[32:33], v5
	v_cvt_f32_f16_e32 v0, v0
	v_cvt_f32_f16_e32 v11, v11
	v_cvt_f64_f32_e32 v[34:35], v9
	v_add_co_u32 v40, vcc_lo, v14, s17
	v_mul_f64 v[20:21], v[20:21], s[18:19]
	v_add_co_ci_u32_e32 v41, vcc_lo, s20, v15, vcc_lo
	v_mul_f64 v[24:25], v[24:25], s[18:19]
	v_cvt_f64_f32_e32 v[44:45], v0
	v_cvt_f32_f16_e32 v22, v37
	v_cvt_f64_f32_e32 v[36:37], v11
	v_mul_f64 v[26:27], v[26:27], s[18:19]
	v_add_co_u32 v42, vcc_lo, v40, s17
	v_mul_f64 v[28:29], v[28:29], s[18:19]
	v_add_co_ci_u32_e32 v43, vcc_lo, s20, v41, vcc_lo
	v_and_or_b32 v0, 0x1ff, v17, v16
	v_cvt_f64_f32_e32 v[38:39], v22
	v_and_or_b32 v9, 0x1ff, v19, v18
	v_mul_f64 v[30:31], v[30:31], s[18:19]
	v_lshrrev_b32_e32 v2, 8, v17
	v_cmp_ne_u32_e32 vcc_lo, 0, v0
	v_bfe_u32 v5, v17, 20, 11
	v_lshrrev_b32_e32 v7, 16, v17
	v_mul_f64 v[32:33], v[32:33], s[18:19]
	v_and_or_b32 v17, 0x1ff, v21, v20
	v_cndmask_b32_e64 v0, 0, 1, vcc_lo
	v_cmp_ne_u32_e32 vcc_lo, 0, v9
	v_lshrrev_b32_e32 v11, 8, v19
	v_bfe_u32 v13, v19, 20, 11
	v_lshrrev_b32_e32 v16, 16, v19
	v_lshrrev_b32_e32 v18, 8, v21
	v_bfe_u32 v19, v21, 20, 11
	v_lshrrev_b32_e32 v20, 16, v21
	v_and_or_b32 v21, 0x1ff, v25, v24
	v_cndmask_b32_e64 v9, 0, 1, vcc_lo
	v_cmp_ne_u32_e32 vcc_lo, 0, v17
	v_mul_f64 v[34:35], v[34:35], s[18:19]
	v_and_or_b32 v26, 0x1ff, v27, v26
	v_mul_f64 v[36:37], v[36:37], s[18:19]
	v_and_or_b32 v28, 0x1ff, v29, v28
	v_cndmask_b32_e64 v17, 0, 1, vcc_lo
	v_cmp_ne_u32_e32 vcc_lo, 0, v21
	v_mul_f64 v[38:39], v[38:39], s[18:19]
	v_and_or_b32 v30, 0x1ff, v31, v30
	v_and_or_b32 v0, 0xffe, v2, v0
	;; [unrolled: 1-line block ×3, first 2 shown]
	v_cndmask_b32_e64 v21, 0, 1, vcc_lo
	v_cmp_ne_u32_e32 vcc_lo, 0, v26
	v_bfe_u32 v24, v25, 20, 11
	v_sub_nc_u32_e32 v60, 0x3f1, v5
	v_add_nc_u32_e32 v5, 0xfffffc10, v5
	v_sub_nc_u32_e32 v61, 0x3f1, v13
	v_cndmask_b32_e64 v26, 0, 1, vcc_lo
	v_cmp_ne_u32_e32 vcc_lo, 0, v28
	v_and_or_b32 v9, 0xffe, v11, v9
	v_lshrrev_b32_e32 v22, 8, v25
	v_bfe_u32 v47, v27, 20, 11
	v_bfe_u32 v49, v29, 20, 11
	v_cndmask_b32_e64 v28, 0, 1, vcc_lo
	v_cmp_ne_u32_e32 vcc_lo, 0, v30
	v_and_or_b32 v34, 0x1ff, v35, v34
	v_and_or_b32 v36, 0x1ff, v37, v36
	v_add_nc_u32_e32 v13, 0xfffffc10, v13
	v_sub_nc_u32_e32 v62, 0x3f1, v19
	v_cndmask_b32_e64 v30, 0, 1, vcc_lo
	v_cmp_ne_u32_e32 vcc_lo, 0, v32
	v_and_or_b32 v38, 0x1ff, v39, v38
	v_sub_nc_u32_e32 v63, 0x3f1, v24
	v_med3_i32 v2, v60, 0, 13
	v_med3_i32 v11, v61, 0, 13
	v_cndmask_b32_e64 v32, 0, 1, vcc_lo
	v_cmp_ne_u32_e32 vcc_lo, 0, v34
	v_and_or_b32 v17, 0xffe, v18, v17
	v_or_b32_e32 v60, 0x1000, v0
	v_lshl_or_b32 v61, v5, 12, v0
	v_lshrrev_b32_e32 v46, 8, v27
	v_cndmask_b32_e64 v34, 0, 1, vcc_lo
	v_cmp_ne_u32_e32 vcc_lo, 0, v36
	v_lshrrev_b32_e32 v48, 8, v29
	v_bfe_u32 v51, v31, 20, 11
	v_bfe_u32 v53, v33, 20, 11
	v_add_nc_u32_e32 v19, 0xfffffc10, v19
	v_cndmask_b32_e64 v36, 0, 1, vcc_lo
	v_cmp_ne_u32_e32 vcc_lo, 0, v38
	v_sub_nc_u32_e32 v64, 0x3f1, v47
	v_sub_nc_u32_e32 v65, 0x3f1, v49
	v_med3_i32 v18, v62, 0, 13
	v_and_or_b32 v21, 0xffe, v22, v21
	v_cndmask_b32_e64 v38, 0, 1, vcc_lo
	v_cmp_ne_u32_e32 vcc_lo, 0, v0
	v_med3_i32 v22, v63, 0, 13
	v_or_b32_e32 v62, 0x1000, v9
	v_lshl_or_b32 v63, v13, 12, v9
	v_lshrrev_b32_e32 v50, 8, v31
	v_cndmask_b32_e64 v0, 0, 1, vcc_lo
	v_cmp_ne_u32_e32 vcc_lo, 0, v9
	v_lshrrev_b32_e32 v52, 8, v33
	v_bfe_u32 v55, v35, 20, 11
	v_bfe_u32 v57, v37, 20, 11
	v_add_nc_u32_e32 v24, 0xfffffc10, v24
	v_cndmask_b32_e64 v9, 0, 1, vcc_lo
	v_cmp_ne_u32_e32 vcc_lo, 0, v17
	v_sub_nc_u32_e32 v66, 0x3f1, v51
	v_sub_nc_u32_e32 v67, 0x3f1, v53
	v_and_or_b32 v26, 0xffe, v46, v26
	v_med3_i32 v46, v64, 0, 13
	v_and_or_b32 v28, 0xffe, v48, v28
	v_med3_i32 v48, v65, 0, 13
	v_or_b32_e32 v64, 0x1000, v17
	v_lshl_or_b32 v65, v19, 12, v17
	v_cndmask_b32_e64 v17, 0, 1, vcc_lo
	v_cmp_ne_u32_e32 vcc_lo, 0, v21
	v_lshrrev_b32_e32 v54, 8, v35
	v_lshrrev_b32_e32 v56, 8, v37
	v_add_nc_u32_e32 v47, 0xfffffc10, v47
	v_sub_nc_u32_e32 v68, 0x3f1, v55
	v_sub_nc_u32_e32 v69, 0x3f1, v57
	v_and_or_b32 v30, 0xffe, v50, v30
	v_med3_i32 v50, v66, 0, 13
	v_and_or_b32 v32, 0xffe, v52, v32
	v_med3_i32 v52, v67, 0, 13
	v_or_b32_e32 v66, 0x1000, v21
	v_lshl_or_b32 v67, v24, 12, v21
	v_cndmask_b32_e64 v21, 0, 1, vcc_lo
	v_cmp_ne_u32_e32 vcc_lo, 0, v26
	v_add_nc_u32_e32 v49, 0xfffffc10, v49
	v_and_or_b32 v34, 0xffe, v54, v34
	v_med3_i32 v54, v68, 0, 13
	v_and_or_b32 v36, 0xffe, v56, v36
	v_med3_i32 v56, v69, 0, 13
	v_or_b32_e32 v68, 0x1000, v26
	v_lshl_or_b32 v69, v47, 12, v26
	v_cndmask_b32_e64 v26, 0, 1, vcc_lo
	v_cmp_ne_u32_e32 vcc_lo, 0, v28
	v_add_nc_u32_e32 v51, 0xfffffc10, v51
	v_or_b32_e32 v70, 0x1000, v28
	v_lshl_or_b32 v71, v49, 12, v28
	v_add_nc_u32_e32 v53, 0xfffffc10, v53
	v_cndmask_b32_e64 v28, 0, 1, vcc_lo
	v_cmp_ne_u32_e32 vcc_lo, 0, v30
	v_or_b32_e32 v72, 0x1000, v30
	v_lshl_or_b32 v73, v51, 12, v30
	v_lshrrev_b32_e32 v80, v2, v60
	v_add_nc_u32_e32 v55, 0xfffffc10, v55
	v_cndmask_b32_e64 v30, 0, 1, vcc_lo
	v_cmp_ne_u32_e32 vcc_lo, 0, v32
	v_or_b32_e32 v74, 0x1000, v32
	v_lshl_or_b32 v75, v53, 12, v32
	v_lshrrev_b32_e32 v81, v11, v62
	v_lshlrev_b32_e32 v2, v2, v80
	v_cndmask_b32_e64 v32, 0, 1, vcc_lo
	v_cmp_ne_u32_e32 vcc_lo, 0, v34
	v_or_b32_e32 v76, 0x1000, v34
	v_lshl_or_b32 v77, v55, 12, v34
	v_lshrrev_b32_e32 v82, v18, v64
	v_lshlrev_b32_e32 v11, v11, v81
	v_cndmask_b32_e64 v34, 0, 1, vcc_lo
	v_cmp_ne_u32_e32 vcc_lo, v2, v60
	v_lshrrev_b32_e32 v83, v22, v66
	v_lshlrev_b32_e32 v18, v18, v82
	v_lshrrev_b32_e32 v84, v46, v68
	v_lshrrev_b32_e32 v85, v48, v70
	v_cndmask_b32_e64 v2, 0, 1, vcc_lo
	v_cmp_ne_u32_e32 vcc_lo, v11, v62
	v_lshlrev_b32_e32 v22, v22, v83
	v_lshlrev_b32_e32 v46, v46, v84
	v_lshrrev_b32_e32 v86, v50, v72
	v_lshlrev_b32_e32 v48, v48, v85
	v_cndmask_b32_e64 v11, 0, 1, vcc_lo
	v_cmp_ne_u32_e32 vcc_lo, v18, v64
	v_lshrrev_b32_e32 v87, v52, v74
	v_lshlrev_b32_e32 v50, v50, v86
	v_or_b32_e32 v78, 0x1000, v36
	v_lshrrev_b32_e32 v88, v54, v76
	v_cndmask_b32_e64 v18, 0, 1, vcc_lo
	v_cmp_ne_u32_e32 vcc_lo, v22, v66
	v_lshlrev_b32_e32 v52, v52, v87
	v_lshrrev_b32_e32 v89, v56, v78
	v_lshlrev_b32_e32 v54, v54, v88
	v_or_b32_e32 v2, v80, v2
	v_cndmask_b32_e64 v22, 0, 1, vcc_lo
	v_cmp_ne_u32_e32 vcc_lo, v46, v68
	v_lshlrev_b32_e32 v56, v56, v89
	v_or_b32_e32 v11, v81, v11
	v_or_b32_e32 v18, v82, v18
	;; [unrolled: 1-line block ×3, first 2 shown]
	v_cndmask_b32_e64 v46, 0, 1, vcc_lo
	v_cmp_ne_u32_e32 vcc_lo, v48, v70
	v_add_nc_u32_e32 v57, 0xfffffc10, v57
	v_lshl_or_b32 v0, v0, 9, 0x7c00
	v_lshl_or_b32 v9, v9, 9, 0x7c00
	v_or_b32_e32 v46, v84, v46
	v_cndmask_b32_e64 v48, 0, 1, vcc_lo
	v_cmp_ne_u32_e32 vcc_lo, v50, v72
	v_lshl_or_b32 v79, v57, 12, v36
	v_lshl_or_b32 v17, v17, 9, 0x7c00
	;; [unrolled: 1-line block ×3, first 2 shown]
	v_or_b32_e32 v48, v85, v48
	v_cndmask_b32_e64 v50, 0, 1, vcc_lo
	v_cmp_ne_u32_e32 vcc_lo, v52, v74
	v_lshl_or_b32 v26, v26, 9, 0x7c00
	v_lshl_or_b32 v28, v28, 9, 0x7c00
	;; [unrolled: 1-line block ×3, first 2 shown]
	v_or_b32_e32 v50, v86, v50
	v_cndmask_b32_e64 v52, 0, 1, vcc_lo
	v_cmp_ne_u32_e32 vcc_lo, v54, v76
	v_lshrrev_b32_e32 v25, 16, v25
	v_lshrrev_b32_e32 v27, 16, v27
	v_lshl_or_b32 v32, v32, 9, 0x7c00
	v_or_b32_e32 v52, v87, v52
	v_cndmask_b32_e64 v54, 0, 1, vcc_lo
	v_cmp_ne_u32_e32 vcc_lo, v56, v78
	v_lshrrev_b32_e32 v29, 16, v29
	v_lshrrev_b32_e32 v31, 16, v31
	;; [unrolled: 1-line block ×3, first 2 shown]
	v_or_b32_e32 v54, v88, v54
	v_cndmask_b32_e64 v56, 0, 1, vcc_lo
	v_cmp_gt_i32_e32 vcc_lo, 1, v5
	v_lshl_or_b32 v34, v34, 9, 0x7c00
	v_lshrrev_b32_e32 v58, 8, v39
	v_bfe_u32 v59, v39, 20, 11
	v_or_b32_e32 v56, v89, v56
	v_cndmask_b32_e32 v2, v61, v2, vcc_lo
	v_cmp_gt_i32_e32 vcc_lo, 1, v13
	v_and_b32_e32 v60, 7, v2
	v_cndmask_b32_e32 v11, v63, v11, vcc_lo
	v_cmp_gt_i32_e32 vcc_lo, 1, v19
	v_lshrrev_b32_e32 v2, 2, v2
	v_cmp_eq_u32_e64 s0, 3, v60
	v_and_b32_e32 v61, 7, v11
	v_cndmask_b32_e32 v18, v65, v18, vcc_lo
	v_cmp_gt_i32_e32 vcc_lo, 1, v24
	v_lshrrev_b32_e32 v11, 2, v11
	v_cmp_lt_i32_e64 s1, 5, v61
	v_and_b32_e32 v62, 7, v18
	v_cndmask_b32_e32 v22, v67, v22, vcc_lo
	v_cmp_gt_i32_e32 vcc_lo, 1, v47
	v_cmp_eq_u32_e64 s2, 3, v61
	v_lshrrev_b32_e32 v18, 2, v18
	v_cmp_lt_i32_e64 s3, 5, v62
	v_and_b32_e32 v63, 7, v22
	v_cndmask_b32_e32 v46, v69, v46, vcc_lo
	v_cmp_gt_i32_e32 vcc_lo, 1, v49
	v_cmp_eq_u32_e64 s4, 3, v62
	;; [unrolled: 6-line block ×6, first 2 shown]
	v_lshrrev_b32_e32 v52, 2, v52
	v_cmp_lt_i32_e64 s13, 5, v67
	v_and_b32_e32 v68, 7, v54
	v_cndmask_b32_e32 v56, v79, v56, vcc_lo
	v_cmp_lt_i32_e32 vcc_lo, 5, v60
	v_cmp_eq_u32_e64 s14, 3, v67
	v_lshrrev_b32_e32 v54, 2, v54
	v_cmp_lt_i32_e64 s15, 5, v68
	v_cmp_eq_u32_e64 s16, 3, v68
	s_or_b32 vcc_lo, s0, vcc_lo
	v_and_b32_e32 v69, 7, v56
	v_add_co_ci_u32_e32 v2, vcc_lo, 0, v2, vcc_lo
	s_or_b32 vcc_lo, s2, s1
	v_add_co_ci_u32_e32 v11, vcc_lo, 0, v11, vcc_lo
	s_or_b32 vcc_lo, s4, s3
	v_cmp_eq_u32_e64 s0, 3, v69
	v_add_co_ci_u32_e32 v18, vcc_lo, 0, v18, vcc_lo
	s_or_b32 vcc_lo, s6, s5
	v_add_co_ci_u32_e32 v22, vcc_lo, 0, v22, vcc_lo
	s_or_b32 vcc_lo, s8, s7
	;; [unrolled: 2-line block ×6, first 2 shown]
	v_add_co_ci_u32_e32 v54, vcc_lo, 0, v54, vcc_lo
	v_cmp_gt_i32_e32 vcc_lo, 31, v5
	v_cndmask_b32_e32 v2, 0x7c00, v2, vcc_lo
	v_cmp_gt_i32_e32 vcc_lo, 31, v13
	v_cndmask_b32_e32 v11, 0x7c00, v11, vcc_lo
	;; [unrolled: 2-line block ×8, first 2 shown]
	v_cmp_eq_u32_e32 vcc_lo, 0x40f, v5
	v_cndmask_b32_e32 v0, v2, v0, vcc_lo
	v_cmp_eq_u32_e32 vcc_lo, 0x40f, v13
	v_and_or_b32 v0, 0x8000, v7, v0
	v_cndmask_b32_e32 v2, v11, v9, vcc_lo
	v_cmp_eq_u32_e32 vcc_lo, 0x40f, v19
	v_lshrrev_b32_e32 v19, 16, v1
	v_and_b32_e32 v0, 0xffff, v0
	v_and_or_b32 v2, 0x8000, v16, v2
	v_cndmask_b32_e32 v5, v18, v17, vcc_lo
	v_cmp_eq_u32_e32 vcc_lo, 0x40f, v24
	v_lshl_or_b32 v0, v2, 16, v0
	v_and_or_b32 v5, 0x8000, v20, v5
	v_cndmask_b32_e32 v9, v22, v21, vcc_lo
	v_cmp_eq_u32_e32 vcc_lo, 0x40f, v47
	v_add_nc_u32_e32 v20, 0xfffffc10, v59
	v_and_b32_e32 v5, 0xffff, v5
	v_and_or_b32 v7, 0x8000, v25, v9
	v_cndmask_b32_e32 v11, v46, v26, vcc_lo
	v_cmp_eq_u32_e32 vcc_lo, 0x40f, v49
	s_waitcnt vmcnt(4)
	v_mul_f16_sdwa v26, v1, v6 dst_sel:DWORD dst_unused:UNUSED_PAD src0_sel:DWORD src1_sel:WORD_1
	v_lshl_or_b32 v2, v7, 16, v5
	v_and_or_b32 v9, 0x8000, v27, v11
	v_cndmask_b32_e32 v13, v48, v28, vcc_lo
	v_cmp_eq_u32_e32 vcc_lo, 0x40f, v51
	v_and_b32_e32 v9, 0xffff, v9
	v_and_or_b32 v11, 0x8000, v29, v13
	v_cndmask_b32_e32 v17, v50, v30, vcc_lo
	v_cmp_eq_u32_e32 vcc_lo, 0x40f, v53
	v_lshl_or_b32 v5, v11, 16, v9
	v_and_or_b32 v13, 0x8000, v31, v17
	v_cndmask_b32_e32 v18, v52, v32, vcc_lo
	v_cmp_gt_i32_e32 vcc_lo, 31, v55
	global_store_dword v[14:15], v0, off
	global_store_dword v[40:41], v2, off
	;; [unrolled: 1-line block ×3, first 2 shown]
	v_lshrrev_b32_e32 v11, 2, v56
	v_and_b32_e32 v13, 0xffff, v13
	v_and_or_b32 v16, 0x8000, v33, v18
	v_cndmask_b32_e32 v7, 0x7c00, v54, vcc_lo
	v_cmp_eq_u32_e32 vcc_lo, 0x40f, v55
	v_sub_nc_u32_e32 v5, 0x3f1, v59
	v_lshrrev_b32_e32 v2, 16, v35
	v_lshl_or_b32 v9, v16, 16, v13
	v_mul_f64 v[13:14], v[44:45], s[18:19]
	v_cndmask_b32_e32 v0, v7, v34, vcc_lo
	v_cmp_lt_i32_e32 vcc_lo, 5, v69
	v_and_or_b32 v7, 0xffe, v58, v38
	v_med3_i32 v5, v5, 0, 13
	v_mul_f16_sdwa v18, v19, v6 dst_sel:DWORD dst_unused:UNUSED_PAD src0_sel:DWORD src1_sel:WORD_1
	v_and_or_b32 v0, 0x8000, v2, v0
	s_or_b32 vcc_lo, s0, vcc_lo
	v_or_b32_e32 v15, 0x1000, v7
	v_add_co_ci_u32_e32 v11, vcc_lo, 0, v11, vcc_lo
	v_cmp_ne_u32_e32 vcc_lo, 0, v36
	v_fmac_f16_e32 v18, v1, v6
	v_lshrrev_b32_e32 v17, v5, v15
	v_and_b32_e32 v0, 0xffff, v0
	v_cndmask_b32_e64 v16, 0, 1, vcc_lo
	v_cmp_gt_i32_e32 vcc_lo, 31, v57
	v_lshlrev_b32_e32 v2, v5, v17
	v_lshl_or_b32 v16, v16, 9, 0x7c00
	v_cndmask_b32_e32 v11, 0x7c00, v11, vcc_lo
	v_cmp_eq_u32_e32 vcc_lo, 0x40f, v57
	v_and_or_b32 v13, 0x1ff, v14, v13
	v_bfe_u32 v21, v14, 20, 11
	v_cndmask_b32_e32 v5, v11, v16, vcc_lo
	v_cmp_ne_u32_e32 vcc_lo, v2, v15
	v_cvt_f32_f16_e32 v16, v18
	v_lshrrev_b32_e32 v11, 16, v37
	v_lshrrev_b32_e32 v18, 8, v14
	v_cndmask_b32_e64 v2, 0, 1, vcc_lo
	v_cmp_ne_u32_e32 vcc_lo, 0, v13
	v_cvt_f64_f32_e32 v[15:16], v16
	v_and_or_b32 v5, 0x8000, v11, v5
	v_lshl_or_b32 v11, v20, 12, v7
	v_or_b32_e32 v2, v17, v2
	v_cndmask_b32_e64 v13, 0, 1, vcc_lo
	v_sub_nc_u32_e32 v17, 0x3f1, v21
	v_cmp_gt_i32_e32 vcc_lo, 1, v20
	v_lshl_or_b32 v24, v5, 16, v0
	v_and_or_b32 v13, 0xffe, v18, v13
	v_med3_i32 v22, v17, 0, 13
	v_cndmask_b32_e32 v2, v11, v2, vcc_lo
	v_add_co_u32 v17, vcc_lo, v42, s17
	v_or_b32_e32 v11, 0x1000, v13
	v_add_co_ci_u32_e32 v18, vcc_lo, s20, v43, vcc_lo
	v_and_b32_e32 v5, 7, v2
	v_add_co_u32 v0, vcc_lo, v17, s17
	v_lshrrev_b32_e32 v25, v22, v11
	v_add_co_ci_u32_e32 v1, vcc_lo, s20, v18, vcc_lo
	v_mul_f64 v[15:16], v[15:16], s[18:19]
	v_cmp_lt_i32_e32 vcc_lo, 5, v5
	v_lshlrev_b32_e32 v22, v22, v25
	v_cmp_eq_u32_e64 s0, 3, v5
	v_fma_f16 v5, v6, v19, -v26
	v_lshrrev_b32_e32 v2, 2, v2
	v_cmp_ne_u32_e64 s1, v22, v11
	s_or_b32 vcc_lo, s0, vcc_lo
	v_cvt_f32_f16_e32 v5, v5
	v_add_co_ci_u32_e32 v19, vcc_lo, 0, v2, vcc_lo
	v_cndmask_b32_e64 v6, 0, 1, s1
	v_add_nc_u32_e32 v11, 0xfffffc10, v21
	v_cmp_ne_u32_e32 vcc_lo, 0, v7
	ds_read2_b32 v[2:3], v3 offset0:122 offset1:176
	global_store_dword v[17:18], v9, off
	global_store_dword v[0:1], v24, off
	v_or_b32_e32 v21, v25, v6
	v_cvt_f64_f32_e32 v[5:6], v5
	v_lshl_or_b32 v22, v11, 12, v13
	v_cndmask_b32_e64 v7, 0, 1, vcc_lo
	v_cmp_gt_i32_e32 vcc_lo, 1, v11
	v_and_or_b32 v15, 0x1ff, v16, v15
	v_lshrrev_b32_e32 v25, 8, v16
	v_bfe_u32 v26, v16, 20, 11
	v_lshl_or_b32 v7, v7, 9, 0x7c00
	v_cndmask_b32_e32 v21, v22, v21, vcc_lo
	v_cmp_gt_i32_e32 vcc_lo, 31, v20
	v_lshrrev_b32_e32 v16, 16, v16
	v_and_b32_e32 v22, 7, v21
	v_cndmask_b32_e32 v19, 0x7c00, v19, vcc_lo
	v_cmp_ne_u32_e32 vcc_lo, 0, v15
	v_lshrrev_b32_e32 v21, 2, v21
	v_cmp_eq_u32_e64 s0, 3, v22
	v_cndmask_b32_e64 v15, 0, 1, vcc_lo
	v_cmp_eq_u32_e32 vcc_lo, 0x40f, v20
	v_mul_f64 v[5:6], v[5:6], s[18:19]
	v_sub_nc_u32_e32 v20, 0x3f1, v26
	v_and_or_b32 v15, 0xffe, v25, v15
	v_cndmask_b32_e32 v7, v19, v7, vcc_lo
	v_cmp_lt_i32_e32 vcc_lo, 5, v22
	v_med3_i32 v20, v20, 0, 13
	s_waitcnt lgkmcnt(0)
	v_lshrrev_b32_e32 v25, 16, v2
	v_or_b32_e32 v22, 0x1000, v15
	v_lshrrev_b32_e32 v19, 16, v39
	s_or_b32 vcc_lo, s0, vcc_lo
	v_add_co_ci_u32_e32 v21, vcc_lo, 0, v21, vcc_lo
	v_cmp_ne_u32_e32 vcc_lo, 0, v13
	v_lshrrev_b32_e32 v28, v20, v22
	s_waitcnt vmcnt(3)
	v_mul_f16_sdwa v27, v25, v12 dst_sel:DWORD dst_unused:UNUSED_PAD src0_sel:DWORD src1_sel:WORD_1
	v_and_or_b32 v7, 0x8000, v19, v7
	v_cndmask_b32_e64 v13, 0, 1, vcc_lo
	v_cmp_gt_i32_e32 vcc_lo, 31, v11
	v_lshlrev_b32_e32 v19, v20, v28
	v_fmac_f16_e32 v27, v2, v12
	v_and_or_b32 v5, 0x1ff, v6, v5
	v_lshl_or_b32 v13, v13, 9, 0x7c00
	v_cndmask_b32_e32 v21, 0x7c00, v21, vcc_lo
	v_cmp_eq_u32_e32 vcc_lo, 0x40f, v11
	v_cvt_f32_f16_e32 v20, v27
	v_and_b32_e32 v7, 0xffff, v7
	v_mul_f16_sdwa v2, v2, v12 dst_sel:DWORD dst_unused:UNUSED_PAD src0_sel:DWORD src1_sel:WORD_1
	v_cndmask_b32_e32 v11, v21, v13, vcc_lo
	v_cmp_ne_u32_e32 vcc_lo, v19, v22
	v_lshrrev_b32_e32 v21, 16, v14
	v_cvt_f64_f32_e32 v[13:14], v20
	v_add_nc_u32_e32 v20, 0xfffffc10, v26
	v_lshrrev_b32_e32 v22, 8, v6
	v_cndmask_b32_e64 v19, 0, 1, vcc_lo
	v_cmp_ne_u32_e32 vcc_lo, 0, v5
	v_bfe_u32 v26, v6, 20, 11
	v_and_or_b32 v11, 0x8000, v21, v11
	v_lshl_or_b32 v21, v20, 12, v15
	v_or_b32_e32 v19, v28, v19
	v_cndmask_b32_e64 v5, 0, 1, vcc_lo
	v_cmp_gt_i32_e32 vcc_lo, 1, v20
	v_lshl_or_b32 v7, v11, 16, v7
	v_fma_f16 v2, v12, v25, -v2
	v_add_nc_u32_e32 v18, 0xfffffc10, v26
	v_and_or_b32 v5, 0xffe, v22, v5
	v_sub_nc_u32_e32 v22, 0x3f1, v26
	v_cndmask_b32_e32 v19, v21, v19, vcc_lo
	v_add_co_u32 v0, vcc_lo, v0, s17
	v_or_b32_e32 v21, 0x1000, v5
	v_med3_i32 v22, v22, 0, 13
	v_and_b32_e32 v9, 7, v19
	v_mul_f64 v[13:14], v[13:14], s[18:19]
	v_add_co_ci_u32_e32 v1, vcc_lo, s20, v1, vcc_lo
	v_lshrrev_b32_e32 v11, v22, v21
	v_cmp_lt_i32_e32 vcc_lo, 5, v9
	v_cmp_eq_u32_e64 s0, 3, v9
	v_lshrrev_b32_e32 v9, 2, v19
	v_cvt_f32_f16_e32 v2, v2
	v_lshlrev_b32_e32 v17, v22, v11
	v_lshl_or_b32 v19, v18, 12, v5
	s_or_b32 vcc_lo, s0, vcc_lo
	global_store_dword v[0:1], v7, off
	v_add_co_ci_u32_e32 v9, vcc_lo, 0, v9, vcc_lo
	v_cmp_ne_u32_e64 s1, v17, v21
	v_cmp_ne_u32_e32 vcc_lo, 0, v15
	v_cndmask_b32_e64 v17, 0, 1, s1
	v_cndmask_b32_e64 v15, 0, 1, vcc_lo
	v_cmp_gt_i32_e32 vcc_lo, 1, v18
	v_and_or_b32 v13, 0x1ff, v14, v13
	v_bfe_u32 v21, v14, 20, 11
	v_or_b32_e32 v17, v11, v17
	v_cvt_f64_f32_e32 v[11:12], v2
	v_lshl_or_b32 v15, v15, 9, 0x7c00
	v_cndmask_b32_e32 v2, v19, v17, vcc_lo
	v_cmp_gt_i32_e32 vcc_lo, 31, v20
	v_lshrrev_b32_e32 v19, 8, v14
	v_lshrrev_b32_e32 v14, 16, v14
	v_and_b32_e32 v17, 7, v2
	v_cndmask_b32_e32 v9, 0x7c00, v9, vcc_lo
	v_cmp_ne_u32_e32 vcc_lo, 0, v13
	v_lshrrev_b32_e32 v2, 2, v2
	v_cmp_eq_u32_e64 s0, 3, v17
	v_cndmask_b32_e64 v13, 0, 1, vcc_lo
	v_cmp_eq_u32_e32 vcc_lo, 0x40f, v20
	v_and_or_b32 v13, 0xffe, v19, v13
	v_cndmask_b32_e32 v9, v9, v15, vcc_lo
	v_cmp_lt_i32_e32 vcc_lo, 5, v17
	v_lshrrev_b32_e32 v17, 16, v3
	v_mul_f64 v[11:12], v[11:12], s[18:19]
	v_sub_nc_u32_e32 v15, 0x3f1, v21
	v_or_b32_e32 v19, 0x1000, v13
	s_or_b32 vcc_lo, s0, vcc_lo
	s_waitcnt vmcnt(2)
	v_mul_f16_sdwa v20, v17, v10 dst_sel:DWORD dst_unused:UNUSED_PAD src0_sel:DWORD src1_sel:WORD_1
	v_add_co_ci_u32_e32 v2, vcc_lo, 0, v2, vcc_lo
	v_cmp_ne_u32_e32 vcc_lo, 0, v5
	v_med3_i32 v15, v15, 0, 13
	v_fmac_f16_e32 v20, v3, v10
	v_and_or_b32 v9, 0x8000, v16, v9
	v_mul_f16_sdwa v3, v3, v10 dst_sel:DWORD dst_unused:UNUSED_PAD src0_sel:DWORD src1_sel:WORD_1
	v_cndmask_b32_e64 v5, 0, 1, vcc_lo
	v_cmp_gt_i32_e32 vcc_lo, 31, v18
	v_lshrrev_b32_e32 v22, v15, v19
	v_cvt_f32_f16_e32 v20, v20
	v_and_b32_e32 v9, 0xffff, v9
	v_lshl_or_b32 v5, v5, 9, 0x7c00
	v_cndmask_b32_e32 v2, 0x7c00, v2, vcc_lo
	v_cmp_eq_u32_e32 vcc_lo, 0x40f, v18
	v_lshlrev_b32_e32 v15, v15, v22
	v_lshrrev_b32_e32 v18, 16, v6
	v_and_or_b32 v11, 0x1ff, v12, v11
	v_fma_f16 v3, v10, v17, -v3
	v_cndmask_b32_e32 v2, v2, v5, vcc_lo
	v_cvt_f64_f32_e32 v[5:6], v20
	v_cmp_ne_u32_e32 vcc_lo, v15, v19
	v_add_nc_u32_e32 v19, 0xfffffc10, v21
	v_bfe_u32 v20, v12, 20, 11
	v_and_or_b32 v2, 0x8000, v18, v2
	v_lshrrev_b32_e32 v18, 8, v12
	v_cndmask_b32_e64 v15, 0, 1, vcc_lo
	v_cmp_ne_u32_e32 vcc_lo, 0, v11
	v_lshl_or_b32 v16, v19, 12, v13
	v_add_nc_u32_e32 v10, 0x600, v23
	v_or_b32_e32 v15, v22, v15
	v_cndmask_b32_e64 v11, 0, 1, vcc_lo
	v_cmp_gt_i32_e32 vcc_lo, 1, v19
	v_and_or_b32 v11, 0xffe, v18, v11
	v_cndmask_b32_e32 v15, v16, v15, vcc_lo
	v_sub_nc_u32_e32 v16, 0x3f1, v20
	v_lshl_or_b32 v18, v2, 16, v9
	v_add_co_u32 v0, vcc_lo, v0, s17
	v_mul_f64 v[5:6], v[5:6], s[18:19]
	v_or_b32_e32 v7, 0x1000, v11
	v_med3_i32 v9, v16, 0, 13
	v_and_b32_e32 v2, 7, v15
	v_add_co_ci_u32_e32 v1, vcc_lo, s20, v1, vcc_lo
	v_lshrrev_b32_e32 v16, v9, v7
	v_cmp_lt_i32_e32 vcc_lo, 5, v2
	v_cmp_eq_u32_e64 s0, 3, v2
	v_lshrrev_b32_e32 v2, 2, v15
	v_cvt_f32_f16_e32 v15, v3
	v_lshlrev_b32_e32 v9, v9, v16
	s_or_b32 vcc_lo, s0, vcc_lo
	v_add_co_ci_u32_e32 v17, vcc_lo, 0, v2, vcc_lo
	v_cmp_ne_u32_e32 vcc_lo, v9, v7
	ds_read2_b32 v[2:3], v10 offset0:102 offset1:156
	v_cvt_f64_f32_e32 v[9:10], v15
	v_add_nc_u32_e32 v15, 0xfffffc10, v20
	v_and_or_b32 v5, 0x1ff, v6, v5
	v_cndmask_b32_e64 v7, 0, 1, vcc_lo
	v_cmp_gt_i32_e32 vcc_lo, 31, v19
	v_lshrrev_b32_e32 v20, 8, v6
	v_bfe_u32 v21, v6, 20, 11
	v_or_b32_e32 v7, v16, v7
	v_cndmask_b32_e32 v17, 0x7c00, v17, vcc_lo
	v_cmp_ne_u32_e32 vcc_lo, 0, v5
	v_lshl_or_b32 v16, v15, 12, v11
	v_cndmask_b32_e64 v5, 0, 1, vcc_lo
	v_cmp_ne_u32_e32 vcc_lo, 0, v13
	v_and_or_b32 v5, 0xffe, v20, v5
	v_cndmask_b32_e64 v13, 0, 1, vcc_lo
	v_cmp_gt_i32_e32 vcc_lo, 1, v15
	s_waitcnt lgkmcnt(0)
	v_lshrrev_b32_e32 v20, 16, v2
	v_mul_f64 v[9:10], v[9:10], s[18:19]
	v_or_b32_e32 v23, 0x1000, v5
	v_lshl_or_b32 v13, v13, 9, 0x7c00
	v_cndmask_b32_e32 v7, v16, v7, vcc_lo
	v_sub_nc_u32_e32 v16, 0x3f1, v21
	v_cmp_eq_u32_e32 vcc_lo, 0x40f, v19
	s_waitcnt vmcnt(1)
	v_mul_f16_sdwa v24, v20, v8 dst_sel:DWORD dst_unused:UNUSED_PAD src0_sel:DWORD src1_sel:WORD_1
	v_add_nc_u32_e32 v21, 0xfffffc10, v21
	v_and_b32_e32 v22, 7, v7
	v_med3_i32 v16, v16, 0, 13
	v_cndmask_b32_e32 v13, v17, v13, vcc_lo
	v_lshrrev_b32_e32 v7, 2, v7
	v_fmac_f16_e32 v24, v2, v8
	v_cmp_lt_i32_e32 vcc_lo, 5, v22
	v_lshrrev_b32_e32 v17, v16, v23
	v_cmp_eq_u32_e64 s0, 3, v22
	v_and_or_b32 v19, 0x8000, v14, v13
	v_cvt_f32_f16_e32 v14, v24
	v_mul_f16_sdwa v2, v2, v8 dst_sel:DWORD dst_unused:UNUSED_PAD src0_sel:DWORD src1_sel:WORD_1
	v_lshlrev_b32_e32 v13, v16, v17
	s_or_b32 vcc_lo, s0, vcc_lo
	v_add_co_ci_u32_e32 v7, vcc_lo, 0, v7, vcc_lo
	v_cmp_ne_u32_e32 vcc_lo, v13, v23
	v_cvt_f64_f32_e32 v[13:14], v14
	v_and_or_b32 v9, 0x1ff, v10, v9
	v_bfe_u32 v22, v10, 20, 11
	v_fma_f16 v2, v8, v20, -v2
	v_cndmask_b32_e64 v16, 0, 1, vcc_lo
	v_cmp_ne_u32_e32 vcc_lo, 0, v11
	v_cvt_f32_f16_e32 v2, v2
	v_or_b32_e32 v16, v17, v16
	v_cndmask_b32_e64 v11, 0, 1, vcc_lo
	v_cmp_gt_i32_e32 vcc_lo, 31, v15
	v_lshl_or_b32 v17, v21, 12, v5
	v_lshl_or_b32 v11, v11, 9, 0x7c00
	v_cndmask_b32_e32 v7, 0x7c00, v7, vcc_lo
	v_cmp_gt_i32_e32 vcc_lo, 1, v21
	v_cndmask_b32_e32 v16, v17, v16, vcc_lo
	v_cmp_ne_u32_e32 vcc_lo, 0, v9
	v_lshrrev_b32_e32 v17, 8, v10
	v_and_b32_e32 v23, 7, v16
	v_cndmask_b32_e64 v9, 0, 1, vcc_lo
	v_cmp_eq_u32_e32 vcc_lo, 0x40f, v15
	v_sub_nc_u32_e32 v15, 0x3f1, v22
	v_cmp_eq_u32_e64 s0, 3, v23
	v_and_or_b32 v9, 0xffe, v17, v9
	v_cndmask_b32_e32 v7, v7, v11, vcc_lo
	v_cmp_lt_i32_e32 vcc_lo, 5, v23
	v_lshrrev_b32_e32 v17, 16, v12
	v_mul_f64 v[11:12], v[13:14], s[18:19]
	v_med3_i32 v14, v15, 0, 13
	v_lshrrev_b32_e32 v15, 2, v16
	v_or_b32_e32 v13, 0x1000, v9
	s_or_b32 vcc_lo, s0, vcc_lo
	v_and_or_b32 v7, 0x8000, v17, v7
	v_and_b32_e32 v16, 0xffff, v19
	v_add_co_ci_u32_e32 v15, vcc_lo, 0, v15, vcc_lo
	v_lshrrev_b32_e32 v17, v14, v13
	v_cmp_ne_u32_e32 vcc_lo, 0, v5
	v_lshl_or_b32 v16, v7, 16, v16
	v_lshlrev_b32_e32 v7, v14, v17
	v_cndmask_b32_e64 v5, 0, 1, vcc_lo
	v_cmp_gt_i32_e32 vcc_lo, 31, v21
	v_lshl_or_b32 v5, v5, 9, 0x7c00
	v_cndmask_b32_e32 v14, 0x7c00, v15, vcc_lo
	v_cmp_ne_u32_e32 vcc_lo, v7, v13
	v_and_or_b32 v11, 0x1ff, v12, v11
	v_add_nc_u32_e32 v15, 0xfffffc10, v22
	v_bfe_u32 v19, v12, 20, 11
	v_cndmask_b32_e64 v7, 0, 1, vcc_lo
	v_cmp_eq_u32_e32 vcc_lo, 0x40f, v21
	v_cndmask_b32_e32 v13, v14, v5, vcc_lo
	v_cmp_ne_u32_e32 vcc_lo, 0, v11
	v_or_b32_e32 v5, v17, v7
	v_lshl_or_b32 v14, v15, 12, v9
	v_lshrrev_b32_e32 v17, 8, v12
	v_cvt_f64_f32_e32 v[7:8], v2
	v_cndmask_b32_e64 v11, 0, 1, vcc_lo
	v_cmp_gt_i32_e32 vcc_lo, 1, v15
	v_lshrrev_b32_e32 v12, 16, v12
	v_and_or_b32 v11, 0xffe, v17, v11
	v_cndmask_b32_e32 v2, v14, v5, vcc_lo
	v_sub_nc_u32_e32 v5, 0x3f1, v19
	v_lshrrev_b32_e32 v17, 16, v3
	v_lshrrev_b32_e32 v14, 16, v6
	v_or_b32_e32 v21, 0x1000, v11
	v_and_b32_e32 v20, 7, v2
	v_med3_i32 v22, v5, 0, 13
	s_waitcnt vmcnt(0)
	v_mul_f16_sdwa v23, v17, v4 dst_sel:DWORD dst_unused:UNUSED_PAD src0_sel:DWORD src1_sel:WORD_1
	v_add_co_u32 v5, vcc_lo, v0, s17
	v_add_co_ci_u32_e32 v6, vcc_lo, s20, v1, vcc_lo
	v_lshrrev_b32_e32 v25, v22, v21
	v_fmac_f16_e32 v23, v3, v4
	v_cmp_lt_i32_e32 vcc_lo, 5, v20
	v_cmp_eq_u32_e64 s0, 3, v20
	v_lshrrev_b32_e32 v2, 2, v2
	v_lshlrev_b32_e32 v20, v22, v25
	v_and_or_b32 v24, 0x8000, v14, v13
	v_cvt_f32_f16_e32 v13, v23
	s_or_b32 vcc_lo, s0, vcc_lo
	v_mul_f64 v[7:8], v[7:8], s[18:19]
	v_add_co_ci_u32_e32 v2, vcc_lo, 0, v2, vcc_lo
	v_cmp_ne_u32_e32 vcc_lo, v20, v21
	v_cvt_f64_f32_e32 v[13:14], v13
	v_add_nc_u32_e32 v19, 0xfffffc10, v19
	v_mul_f16_sdwa v3, v3, v4 dst_sel:DWORD dst_unused:UNUSED_PAD src0_sel:DWORD src1_sel:WORD_1
	v_cndmask_b32_e64 v20, 0, 1, vcc_lo
	v_cmp_ne_u32_e32 vcc_lo, 0, v9
	v_lshl_or_b32 v21, v19, 12, v11
	v_fma_f16 v3, v4, v17, -v3
	v_or_b32_e32 v20, v25, v20
	v_cndmask_b32_e64 v9, 0, 1, vcc_lo
	v_cmp_gt_i32_e32 vcc_lo, 31, v15
	v_cvt_f32_f16_e32 v3, v3
	v_lshl_or_b32 v4, v9, 9, 0x7c00
	v_cndmask_b32_e32 v2, 0x7c00, v2, vcc_lo
	v_cmp_gt_i32_e32 vcc_lo, 1, v19
	v_and_or_b32 v7, 0x1ff, v8, v7
	v_cndmask_b32_e32 v17, v21, v20, vcc_lo
	v_cmp_eq_u32_e32 vcc_lo, 0x40f, v15
	v_lshrrev_b32_e32 v15, 16, v10
	v_mul_f64 v[9:10], v[13:14], s[18:19]
	v_lshrrev_b32_e32 v13, 8, v8
	v_and_b32_e32 v20, 7, v17
	v_cndmask_b32_e32 v4, v2, v4, vcc_lo
	v_cvt_f64_f32_e32 v[2:3], v3
	v_cmp_ne_u32_e32 vcc_lo, 0, v7
	v_bfe_u32 v14, v8, 20, 11
	v_cmp_eq_u32_e64 s0, 3, v20
	v_and_or_b32 v4, 0x8000, v15, v4
	v_and_b32_e32 v15, 0xffff, v24
	v_cndmask_b32_e64 v7, 0, 1, vcc_lo
	v_cmp_lt_i32_e32 vcc_lo, 5, v20
	v_lshrrev_b32_e32 v8, 16, v8
	v_lshl_or_b32 v4, v4, 16, v15
	v_lshrrev_b32_e32 v15, 2, v17
	v_and_or_b32 v7, 0xffe, v13, v7
	v_sub_nc_u32_e32 v13, 0x3f1, v14
	s_or_b32 vcc_lo, s0, vcc_lo
	v_add_nc_u32_e32 v14, 0xfffffc10, v14
	v_add_co_ci_u32_e32 v15, vcc_lo, 0, v15, vcc_lo
	v_or_b32_e32 v17, 0x1000, v7
	v_med3_i32 v13, v13, 0, 13
	v_cmp_ne_u32_e32 vcc_lo, 0, v11
	v_and_or_b32 v9, 0x1ff, v10, v9
	v_mul_f64 v[2:3], v[2:3], s[18:19]
	v_lshrrev_b32_e32 v21, 8, v10
	v_lshrrev_b32_e32 v20, v13, v17
	v_cndmask_b32_e64 v11, 0, 1, vcc_lo
	v_cmp_gt_i32_e32 vcc_lo, 31, v19
	v_bfe_u32 v22, v10, 20, 11
	v_lshrrev_b32_e32 v10, 16, v10
	v_lshlrev_b32_e32 v13, v13, v20
	v_lshl_or_b32 v11, v11, 9, 0x7c00
	v_cndmask_b32_e32 v15, 0x7c00, v15, vcc_lo
	v_cmp_ne_u32_e32 vcc_lo, 0, v9
	v_cndmask_b32_e64 v9, 0, 1, vcc_lo
	v_cmp_ne_u32_e32 vcc_lo, v13, v17
	v_sub_nc_u32_e32 v17, 0x3f1, v22
	v_and_or_b32 v9, 0xffe, v21, v9
	v_cndmask_b32_e64 v13, 0, 1, vcc_lo
	v_cmp_eq_u32_e32 vcc_lo, 0x40f, v19
	v_med3_i32 v17, v17, 0, 13
	v_and_or_b32 v2, 0x1ff, v3, v2
	v_or_b32_e32 v19, 0x1000, v9
	v_or_b32_e32 v13, v20, v13
	v_cndmask_b32_e32 v11, v15, v11, vcc_lo
	v_lshl_or_b32 v15, v14, 12, v7
	v_cmp_gt_i32_e32 vcc_lo, 1, v14
	v_lshrrev_b32_e32 v20, 8, v3
	v_bfe_u32 v21, v3, 20, 11
	v_and_or_b32 v11, 0x8000, v12, v11
	v_cndmask_b32_e32 v13, v15, v13, vcc_lo
	v_lshrrev_b32_e32 v15, v17, v19
	v_cmp_ne_u32_e32 vcc_lo, 0, v2
	v_sub_nc_u32_e32 v12, 0x3f1, v21
	v_and_b32_e32 v23, 7, v13
	v_lshlrev_b32_e32 v17, v17, v15
	v_cndmask_b32_e64 v2, 0, 1, vcc_lo
	v_lshrrev_b32_e32 v13, 2, v13
	v_med3_i32 v12, v12, 0, 13
	v_cmp_lt_i32_e32 vcc_lo, 5, v23
	v_cmp_ne_u32_e64 s0, v17, v19
	v_and_or_b32 v2, 0xffe, v20, v2
	v_add_nc_u32_e32 v20, 0xfffffc10, v22
	v_cndmask_b32_e64 v17, 0, 1, s0
	v_cmp_eq_u32_e64 s0, 3, v23
	v_or_b32_e32 v19, 0x1000, v2
	v_lshl_or_b32 v22, v20, 12, v9
	v_or_b32_e32 v15, v15, v17
	s_or_b32 vcc_lo, s0, vcc_lo
	v_lshrrev_b32_e32 v17, v12, v19
	v_add_co_ci_u32_e32 v13, vcc_lo, 0, v13, vcc_lo
	v_cmp_gt_i32_e32 vcc_lo, 1, v20
	v_lshlrev_b32_e32 v12, v12, v17
	v_cndmask_b32_e32 v15, v22, v15, vcc_lo
	v_cmp_ne_u32_e32 vcc_lo, 0, v7
	v_cndmask_b32_e64 v7, 0, 1, vcc_lo
	v_cmp_ne_u32_e32 vcc_lo, v12, v19
	v_add_nc_u32_e32 v19, 0xfffffc10, v21
	v_and_b32_e32 v21, 7, v15
	v_lshl_or_b32 v7, v7, 9, 0x7c00
	v_cndmask_b32_e64 v12, 0, 1, vcc_lo
	v_cmp_gt_i32_e32 vcc_lo, 31, v14
	v_cmp_gt_i32_e64 s1, 1, v19
	v_cmp_eq_u32_e64 s0, 3, v21
	v_or_b32_e32 v12, v17, v12
	v_lshl_or_b32 v17, v19, 12, v2
	v_cndmask_b32_e32 v13, 0x7c00, v13, vcc_lo
	v_cmp_lt_i32_e32 vcc_lo, 5, v21
	v_cndmask_b32_e64 v12, v17, v12, s1
	v_cmp_eq_u32_e64 s1, 0x40f, v14
	s_or_b32 vcc_lo, s0, vcc_lo
	v_and_b32_e32 v14, 7, v12
	v_cndmask_b32_e64 v7, v13, v7, s1
	v_lshrrev_b32_e32 v13, 2, v15
	v_lshrrev_b32_e32 v12, 2, v12
	v_cmp_gt_i32_e64 s1, 31, v20
	v_cmp_eq_u32_e64 s0, 3, v14
	v_and_or_b32 v7, 0x8000, v8, v7
	v_add_co_ci_u32_e32 v13, vcc_lo, 0, v13, vcc_lo
	v_cmp_ne_u32_e32 vcc_lo, 0, v9
	v_and_b32_e32 v8, 0xffff, v11
	v_lshrrev_b32_e32 v11, 16, v3
	v_cndmask_b32_e64 v13, 0x7c00, v13, s1
	v_cndmask_b32_e64 v9, 0, 1, vcc_lo
	v_cmp_lt_i32_e32 vcc_lo, 5, v14
	v_lshl_or_b32 v9, v9, 9, 0x7c00
	s_or_b32 vcc_lo, s0, vcc_lo
	v_add_co_ci_u32_e32 v12, vcc_lo, 0, v12, vcc_lo
	v_cmp_ne_u32_e32 vcc_lo, 0, v2
	v_cndmask_b32_e64 v2, 0, 1, vcc_lo
	v_cmp_eq_u32_e32 vcc_lo, 0x40f, v20
	v_lshl_or_b32 v2, v2, 9, 0x7c00
	v_cndmask_b32_e32 v9, v13, v9, vcc_lo
	v_cmp_gt_i32_e32 vcc_lo, 31, v19
	v_and_or_b32 v9, 0x8000, v10, v9
	v_cndmask_b32_e32 v12, 0x7c00, v12, vcc_lo
	v_cmp_eq_u32_e32 vcc_lo, 0x40f, v19
	v_and_b32_e32 v9, 0xffff, v9
	v_cndmask_b32_e32 v10, v12, v2, vcc_lo
	v_add_co_u32 v2, vcc_lo, v5, s17
	v_add_co_ci_u32_e32 v3, vcc_lo, s20, v6, vcc_lo
	v_lshl_or_b32 v12, v7, 16, v8
	v_and_or_b32 v10, 0x8000, v11, v10
	v_add_co_u32 v7, vcc_lo, v2, s17
	v_add_co_ci_u32_e32 v8, vcc_lo, s20, v3, vcc_lo
	v_lshl_or_b32 v11, v10, 16, v9
	v_add_co_u32 v9, vcc_lo, v7, s17
	v_add_co_ci_u32_e32 v10, vcc_lo, s20, v8, vcc_lo
	global_store_dword v[0:1], v18, off
	global_store_dword v[5:6], v16, off
	;; [unrolled: 1-line block ×5, first 2 shown]
.LBB0_15:
	s_endpgm
	.section	.rodata,"a",@progbits
	.p2align	6, 0x0
	.amdhsa_kernel bluestein_single_fwd_len594_dim1_half_op_CI_CI
		.amdhsa_group_segment_fixed_size 2376
		.amdhsa_private_segment_fixed_size 0
		.amdhsa_kernarg_size 104
		.amdhsa_user_sgpr_count 6
		.amdhsa_user_sgpr_private_segment_buffer 1
		.amdhsa_user_sgpr_dispatch_ptr 0
		.amdhsa_user_sgpr_queue_ptr 0
		.amdhsa_user_sgpr_kernarg_segment_ptr 1
		.amdhsa_user_sgpr_dispatch_id 0
		.amdhsa_user_sgpr_flat_scratch_init 0
		.amdhsa_user_sgpr_private_segment_size 0
		.amdhsa_wavefront_size32 1
		.amdhsa_uses_dynamic_stack 0
		.amdhsa_system_sgpr_private_segment_wavefront_offset 0
		.amdhsa_system_sgpr_workgroup_id_x 1
		.amdhsa_system_sgpr_workgroup_id_y 0
		.amdhsa_system_sgpr_workgroup_id_z 0
		.amdhsa_system_sgpr_workgroup_info 0
		.amdhsa_system_vgpr_workitem_id 0
		.amdhsa_next_free_vgpr 114
		.amdhsa_next_free_sgpr 21
		.amdhsa_reserve_vcc 1
		.amdhsa_reserve_flat_scratch 0
		.amdhsa_float_round_mode_32 0
		.amdhsa_float_round_mode_16_64 0
		.amdhsa_float_denorm_mode_32 3
		.amdhsa_float_denorm_mode_16_64 3
		.amdhsa_dx10_clamp 1
		.amdhsa_ieee_mode 1
		.amdhsa_fp16_overflow 0
		.amdhsa_workgroup_processor_mode 1
		.amdhsa_memory_ordered 1
		.amdhsa_forward_progress 0
		.amdhsa_shared_vgpr_count 0
		.amdhsa_exception_fp_ieee_invalid_op 0
		.amdhsa_exception_fp_denorm_src 0
		.amdhsa_exception_fp_ieee_div_zero 0
		.amdhsa_exception_fp_ieee_overflow 0
		.amdhsa_exception_fp_ieee_underflow 0
		.amdhsa_exception_fp_ieee_inexact 0
		.amdhsa_exception_int_div_zero 0
	.end_amdhsa_kernel
	.text
.Lfunc_end0:
	.size	bluestein_single_fwd_len594_dim1_half_op_CI_CI, .Lfunc_end0-bluestein_single_fwd_len594_dim1_half_op_CI_CI
                                        ; -- End function
	.section	.AMDGPU.csdata,"",@progbits
; Kernel info:
; codeLenInByte = 16044
; NumSgprs: 23
; NumVgprs: 114
; ScratchSize: 0
; MemoryBound: 0
; FloatMode: 240
; IeeeMode: 1
; LDSByteSize: 2376 bytes/workgroup (compile time only)
; SGPRBlocks: 2
; VGPRBlocks: 14
; NumSGPRsForWavesPerEU: 23
; NumVGPRsForWavesPerEU: 114
; Occupancy: 8
; WaveLimiterHint : 1
; COMPUTE_PGM_RSRC2:SCRATCH_EN: 0
; COMPUTE_PGM_RSRC2:USER_SGPR: 6
; COMPUTE_PGM_RSRC2:TRAP_HANDLER: 0
; COMPUTE_PGM_RSRC2:TGID_X_EN: 1
; COMPUTE_PGM_RSRC2:TGID_Y_EN: 0
; COMPUTE_PGM_RSRC2:TGID_Z_EN: 0
; COMPUTE_PGM_RSRC2:TIDIG_COMP_CNT: 0
	.text
	.p2alignl 6, 3214868480
	.fill 48, 4, 3214868480
	.type	__hip_cuid_ca57c50e537e7ce8,@object ; @__hip_cuid_ca57c50e537e7ce8
	.section	.bss,"aw",@nobits
	.globl	__hip_cuid_ca57c50e537e7ce8
__hip_cuid_ca57c50e537e7ce8:
	.byte	0                               ; 0x0
	.size	__hip_cuid_ca57c50e537e7ce8, 1

	.ident	"AMD clang version 19.0.0git (https://github.com/RadeonOpenCompute/llvm-project roc-6.4.0 25133 c7fe45cf4b819c5991fe208aaa96edf142730f1d)"
	.section	".note.GNU-stack","",@progbits
	.addrsig
	.addrsig_sym __hip_cuid_ca57c50e537e7ce8
	.amdgpu_metadata
---
amdhsa.kernels:
  - .args:
      - .actual_access:  read_only
        .address_space:  global
        .offset:         0
        .size:           8
        .value_kind:     global_buffer
      - .actual_access:  read_only
        .address_space:  global
        .offset:         8
        .size:           8
        .value_kind:     global_buffer
      - .actual_access:  read_only
        .address_space:  global
        .offset:         16
        .size:           8
        .value_kind:     global_buffer
      - .actual_access:  read_only
        .address_space:  global
        .offset:         24
        .size:           8
        .value_kind:     global_buffer
      - .actual_access:  read_only
        .address_space:  global
        .offset:         32
        .size:           8
        .value_kind:     global_buffer
      - .offset:         40
        .size:           8
        .value_kind:     by_value
      - .address_space:  global
        .offset:         48
        .size:           8
        .value_kind:     global_buffer
      - .address_space:  global
        .offset:         56
        .size:           8
        .value_kind:     global_buffer
      - .address_space:  global
        .offset:         64
        .size:           8
        .value_kind:     global_buffer
      - .address_space:  global
        .offset:         72
        .size:           8
        .value_kind:     global_buffer
      - .offset:         80
        .size:           4
        .value_kind:     by_value
      - .address_space:  global
        .offset:         88
        .size:           8
        .value_kind:     global_buffer
      - .address_space:  global
        .offset:         96
        .size:           8
        .value_kind:     global_buffer
    .group_segment_fixed_size: 2376
    .kernarg_segment_align: 8
    .kernarg_segment_size: 104
    .language:       OpenCL C
    .language_version:
      - 2
      - 0
    .max_flat_workgroup_size: 99
    .name:           bluestein_single_fwd_len594_dim1_half_op_CI_CI
    .private_segment_fixed_size: 0
    .sgpr_count:     23
    .sgpr_spill_count: 0
    .symbol:         bluestein_single_fwd_len594_dim1_half_op_CI_CI.kd
    .uniform_work_group_size: 1
    .uses_dynamic_stack: false
    .vgpr_count:     114
    .vgpr_spill_count: 0
    .wavefront_size: 32
    .workgroup_processor_mode: 1
amdhsa.target:   amdgcn-amd-amdhsa--gfx1030
amdhsa.version:
  - 1
  - 2
...

	.end_amdgpu_metadata
